;; amdgpu-corpus repo=ROCm/aiter kind=harvested arch=n/a opt=n/a

/root/src/amdgpu-assembly/repos/ROCm__aiter/hsa/gfx950/fmoe_2stages/fmoe_stage1_bf16_pertokenFp8_doweight_g1u1_128x128_pf3.co:	file format elf64-amdgpu

Disassembly of section .text:

0000000000002a00 <_ZN5aiter54fmoe_stage1_bf16_pertokenFp8_doweight_g1u1_128x128_pf3E>:
	s_and_b32 s1, s1, 0xffff                                   // 000000002A00: 8601FF01 0000FFFF
	s_load_dwordx2 s[8:9], s[0:1], 0x0                         // 000000002A08: C0060200 00000000
	s_load_dwordx2 s[20:21], s[0:1], 0x10                      // 000000002A10: C0060500 00000010
	s_load_dwordx2 s[24:25], s[0:1], 0x20                      // 000000002A18: C0060600 00000020
	s_load_dwordx2 s[48:49], s[0:1], 0x30                      // 000000002A20: C0060C00 00000030
	s_load_dwordx2 s[28:29], s[0:1], 0x40                      // 000000002A28: C0060700 00000040
	s_load_dwordx2 s[32:33], s[0:1], 0x50                      // 000000002A30: C0060800 00000050
	s_load_dwordx2 s[36:37], s[0:1], 0x60                      // 000000002A38: C0060900 00000060
	s_load_dwordx2 s[12:13], s[0:1], 0x70                      // 000000002A40: C0060300 00000070
	s_load_dwordx2 s[44:45], s[0:1], 0x80                      // 000000002A48: C0060B00 00000080
	s_mov_b32 s89, 0                                           // 000000002A50: BED90080
	s_load_dword s64, s[0:1], 0x90                             // 000000002A54: C0021000 00000090
	s_load_dword s65, s[0:1], 0xa0                             // 000000002A5C: C0021040 000000A0
	s_load_dword s66, s[0:1], 0xb0                             // 000000002A64: C0021080 000000B0
	s_load_dword s67, s[0:1], 0xc0                             // 000000002A6C: C00210C0 000000C0
	s_load_dword s68, s[0:1], 0xd0                             // 000000002A74: C0021100 000000D0
	s_load_dword s69, s[0:1], 0xe0                             // 000000002A7C: C0021140 000000E0
	s_load_dword s71, s[0:1], 0xf0                             // 000000002A84: C00211C0 000000F0
	s_load_dword s72, s[0:1], 0x100                            // 000000002A8C: C0021200 00000100
	s_load_dword s74, s[0:1], 0x110                            // 000000002A94: C0021280 00000110
	s_load_dword s76, s[0:1], 0x120                            // 000000002A9C: C0021300 00000120
	s_load_dword s56, s[0:1], 0x130                            // 000000002AA4: C0020E00 00000130
	s_load_dword s88, s[0:1], 0x140                            // 000000002AAC: C0021600 00000140
	s_load_dword s89, s[0:1], 0x150                            // 000000002AB4: C0021640 00000150
	s_load_dwordx2 s[40:41], s[0:1], 0x160                     // 000000002ABC: C0060A00 00000160
	v_lshrrev_b32_e32 v1, 10, v0                               // 000000002AC4: 2002008A
	v_lshrrev_b32_e32 v2, 10, v1                               // 000000002AC8: 2004028A
	v_and_b32_e32 v2, 0x3ff, v2                                // 000000002ACC: 260404FF 000003FF
	v_and_b32_e32 v1, 0x3ff, v1                                // 000000002AD4: 260202FF 000003FF
	v_and_b32_e32 v0, 0x3ff, v0                                // 000000002ADC: 260000FF 000003FF
	v_lshrrev_b32_e32 v3, 6, v0                                // 000000002AE4: 20060086
	v_and_b32_e32 v0, 63, v0                                   // 000000002AE8: 260000BF
	s_mov_b32 s2, s2                                           // 000000002AEC: BE820002
	s_mov_b32 s3, s3                                           // 000000002AF0: BE830003
	s_mov_b32 s4, s4                                           // 000000002AF4: BE840004
	v_readfirstlane_b32 s7, v3                                 // 000000002AF8: 7E0E0503
	s_waitcnt lgkmcnt(0)                                       // 000000002AFC: BF8CC07F
	s_and_b32 s49, s49, 0xffff                                 // 000000002B00: 8631FF31 0000FFFF
	s_load_dword s48, s[48:49], 0x0                            // 000000002B08: C0020C18 00000000
	s_and_b32 s45, s45, 0xffff                                 // 000000002B10: 862DFF2D 0000FFFF
	s_and_b32 s9, s9, 0xffff                                   // 000000002B18: 8609FF09 0000FFFF
	s_mul_i32 s60, s66, s68                                    // 000000002B20: 923C4442
	s_mul_i32 s61, s66, 4                                      // 000000002B24: 923D8442
	s_mov_b32 s22, s60                                         // 000000002B28: BE96003C
	s_mov_b32 s26, -16                                         // 000000002B2C: BE9A00D0
	s_mov_b32 s30, s61                                         // 000000002B30: BE9E003D
	s_mov_b32 s14, 0x200                                       // 000000002B34: BE8E00FF 00000200
	s_mov_b32 s38, -16                                         // 000000002B3C: BEA600D0
	s_mov_b32 s10, -16                                         // 000000002B40: BE8A00D0
	s_mov_b32 s34, 0x200                                       // 000000002B44: BEA200FF 00000200
	s_mov_b32 s23, 0x20000                                     // 000000002B4C: BE9700FF 00020000
	s_mov_b32 s27, 0x20000                                     // 000000002B54: BE9B00FF 00020000
	s_mov_b32 s31, 0x20000                                     // 000000002B5C: BE9F00FF 00020000
	s_mov_b32 s35, 0x20000                                     // 000000002B64: BEA300FF 00020000
	s_mov_b32 s15, 0x20000                                     // 000000002B6C: BE8F00FF 00020000
	s_mov_b32 s39, 0x20000                                     // 000000002B74: BEA700FF 00020000
	s_mov_b32 s11, 0x20000                                     // 000000002B7C: BE8B00FF 00020000
	s_and_b32 s21, s21, 0xffff                                 // 000000002B84: 8615FF15 0000FFFF
	s_and_b32 s25, s25, 0xffff                                 // 000000002B8C: 8619FF19 0000FFFF
	s_and_b32 s29, s29, 0xffff                                 // 000000002B94: 861DFF1D 0000FFFF
	s_and_b32 s33, s33, 0xffff                                 // 000000002B9C: 8621FF21 0000FFFF
	s_and_b32 s13, s13, 0xffff                                 // 000000002BA4: 860DFF0D 0000FFFF
	s_and_b32 s37, s37, 0xffff                                 // 000000002BAC: 8625FF25 0000FFFF
	s_or_b32 s21, s21, 0x40000                                 // 000000002BB4: 8715FF15 00040000
	s_or_b32 s25, s25, 0x40000                                 // 000000002BBC: 8719FF19 00040000
	s_or_b32 s29, s29, 0x40000                                 // 000000002BC4: 871DFF1D 00040000
	s_or_b32 s33, s33, 0x40000                                 // 000000002BCC: 8721FF21 00040000
	s_or_b32 s13, s13, 0x40000                                 // 000000002BD4: 870DFF0D 00040000
	s_or_b32 s37, s37, 0x40000                                 // 000000002BDC: 8725FF25 00040000
	s_mov_b32 s42, -16                                         // 000000002BE4: BEAA00D0
	s_mov_b32 s43, 0x20000                                     // 000000002BE8: BEAB00FF 00020000
	s_and_b32 s41, s41, 0xffff                                 // 000000002BF0: 8629FF29 0000FFFF
	s_or_b32 s41, s41, 0x40000                                 // 000000002BF8: 8729FF29 00040000
	v_accvgpr_write_b32 a175, 0                                // 000000002C00: D3D940AF 18000080
	v_mov_b32_e32 v215, 0                                      // 000000002C08: 7FAE0280
	s_waitcnt lgkmcnt(0)                                       // 000000002C0C: BF8CC07F
	s_mul_i32 s60, s3, 0x80                                    // 000000002C10: 923CFF03 00000080
	s_cmp_lt_i32 s60, s48                                      // 000000002C18: BF04303C
	s_cbranch_scc0 label_3C1E                                  // 000000002C1C: BF843B93
	s_mov_b32 s80, 0                                           // 000000002C20: BED00080
	s_lshr_b32 s81, s64, s88                                   // 000000002C24: 8F515840
	s_mul_i32 s60, s3, 4                                       // 000000002C28: 923C8403
	s_add_u32 s44, s60, s44                                    // 000000002C2C: 802C2C3C
	s_addc_u32 s45, 0, s45                                     // 000000002C30: 822D2D80
	s_load_dword s5, s[44:45], 0x0                             // 000000002C34: C0020156 00000000
	s_mul_i32 s60, s3, 0x80                                    // 000000002C3C: 923CFF03 00000080
	s_mul_i32 s60, 4, s60                                      // 000000002C44: 923C3C84
	s_add_u32 s12, s60, s12                                    // 000000002C48: 800C0C3C
	s_addc_u32 s13, 0, s13                                     // 000000002C4C: 820D0D80
	v_and_b32_e32 v4, 15, v0                                   // 000000002C50: 2608008F
	v_lshlrev_b32_e32 v4, 2, v4                                // 000000002C54: 24080882
	buffer_load_dword v30, v4, s[12:15], 0 offen               // 000000002C58: E0501000 80031E04
	v_add_u32_e32 v4, 64, v4                                   // 000000002C60: 680808C0
	buffer_load_dword v31, v4, s[12:15], 0 offen               // 000000002C64: E0501000 80031F04
	v_add_u32_e32 v4, 64, v4                                   // 000000002C6C: 680808C0
	buffer_load_dword v32, v4, s[12:15], 0 offen               // 000000002C70: E0501000 80032004
	v_add_u32_e32 v4, 64, v4                                   // 000000002C78: 680808C0
	buffer_load_dword v33, v4, s[12:15], 0 offen               // 000000002C7C: E0501000 80032104
	v_add_u32_e32 v4, 64, v4                                   // 000000002C84: 680808C0
	buffer_load_dword v34, v4, s[12:15], 0 offen               // 000000002C88: E0501000 80032204
	v_add_u32_e32 v4, 64, v4                                   // 000000002C90: 680808C0
	buffer_load_dword v35, v4, s[12:15], 0 offen               // 000000002C94: E0501000 80032304
	v_add_u32_e32 v4, 64, v4                                   // 000000002C9C: 680808C0
	buffer_load_dword v36, v4, s[12:15], 0 offen               // 000000002CA0: E0501000 80032404
	v_add_u32_e32 v4, 64, v4                                   // 000000002CA8: 680808C0
	buffer_load_dword v37, v4, s[12:15], 0 offen               // 000000002CAC: E0501000 80032504
	v_add_u32_e32 v4, 64, v4                                   // 000000002CB4: 680808C0
	s_mul_i32 s60, 4, s7                                       // 000000002CB8: 923C0784
	v_lshlrev_b32_e32 v4, 4, v0                                // 000000002CBC: 24080084
	v_add_u32_e32 v4, s60, v4                                  // 000000002CC0: 6808083C
	buffer_load_dword v3, v4, s[12:15], 0 offen                // 000000002CC4: E0501000 80030304
	v_mov_b32_e32 v80, 0                                       // 000000002CCC: 7EA00280
	v_mov_b32_e32 v144, 0                                      // 000000002CD0: 7F200280
	v_mov_b32_e32 v81, 0                                       // 000000002CD4: 7EA20280
	v_mov_b32_e32 v145, 0                                      // 000000002CD8: 7F220280
	v_mov_b32_e32 v82, 0                                       // 000000002CDC: 7EA40280
	v_mov_b32_e32 v146, 0                                      // 000000002CE0: 7F240280
	v_mov_b32_e32 v83, 0                                       // 000000002CE4: 7EA60280
	v_mov_b32_e32 v147, 0                                      // 000000002CE8: 7F260280
	v_mov_b32_e32 v84, 0                                       // 000000002CEC: 7EA80280
	v_mov_b32_e32 v148, 0                                      // 000000002CF0: 7F280280
	v_mov_b32_e32 v85, 0                                       // 000000002CF4: 7EAA0280
	v_mov_b32_e32 v149, 0                                      // 000000002CF8: 7F2A0280
	v_mov_b32_e32 v86, 0                                       // 000000002CFC: 7EAC0280
	v_mov_b32_e32 v150, 0                                      // 000000002D00: 7F2C0280
	v_mov_b32_e32 v87, 0                                       // 000000002D04: 7EAE0280
	v_mov_b32_e32 v151, 0                                      // 000000002D08: 7F2E0280
	v_mov_b32_e32 v88, 0                                       // 000000002D0C: 7EB00280
	v_mov_b32_e32 v152, 0                                      // 000000002D10: 7F300280
	v_mov_b32_e32 v89, 0                                       // 000000002D14: 7EB20280
	v_mov_b32_e32 v153, 0                                      // 000000002D18: 7F320280
	v_mov_b32_e32 v90, 0                                       // 000000002D1C: 7EB40280
	v_mov_b32_e32 v154, 0                                      // 000000002D20: 7F340280
	v_mov_b32_e32 v91, 0                                       // 000000002D24: 7EB60280
	v_mov_b32_e32 v155, 0                                      // 000000002D28: 7F360280
	v_mov_b32_e32 v92, 0                                       // 000000002D2C: 7EB80280
	v_mov_b32_e32 v156, 0                                      // 000000002D30: 7F380280
	v_mov_b32_e32 v93, 0                                       // 000000002D34: 7EBA0280
	v_mov_b32_e32 v157, 0                                      // 000000002D38: 7F3A0280
	v_mov_b32_e32 v94, 0                                       // 000000002D3C: 7EBC0280
	v_mov_b32_e32 v158, 0                                      // 000000002D40: 7F3C0280
	v_mov_b32_e32 v95, 0                                       // 000000002D44: 7EBE0280
	v_mov_b32_e32 v159, 0                                      // 000000002D48: 7F3E0280
	v_mov_b32_e32 v96, 0                                       // 000000002D4C: 7EC00280
	v_mov_b32_e32 v160, 0                                      // 000000002D50: 7F400280
	v_mov_b32_e32 v97, 0                                       // 000000002D54: 7EC20280
	v_mov_b32_e32 v161, 0                                      // 000000002D58: 7F420280
	v_mov_b32_e32 v98, 0                                       // 000000002D5C: 7EC40280
	v_mov_b32_e32 v162, 0                                      // 000000002D60: 7F440280
	v_mov_b32_e32 v99, 0                                       // 000000002D64: 7EC60280
	v_mov_b32_e32 v163, 0                                      // 000000002D68: 7F460280
	v_mov_b32_e32 v100, 0                                      // 000000002D6C: 7EC80280
	v_mov_b32_e32 v164, 0                                      // 000000002D70: 7F480280
	v_mov_b32_e32 v101, 0                                      // 000000002D74: 7ECA0280
	v_mov_b32_e32 v165, 0                                      // 000000002D78: 7F4A0280
	v_mov_b32_e32 v102, 0                                      // 000000002D7C: 7ECC0280
	v_mov_b32_e32 v166, 0                                      // 000000002D80: 7F4C0280
	v_mov_b32_e32 v103, 0                                      // 000000002D84: 7ECE0280
	v_mov_b32_e32 v167, 0                                      // 000000002D88: 7F4E0280
	v_mov_b32_e32 v104, 0                                      // 000000002D8C: 7ED00280
	v_mov_b32_e32 v168, 0                                      // 000000002D90: 7F500280
	v_mov_b32_e32 v105, 0                                      // 000000002D94: 7ED20280
	v_mov_b32_e32 v169, 0                                      // 000000002D98: 7F520280
	v_mov_b32_e32 v106, 0                                      // 000000002D9C: 7ED40280
	v_mov_b32_e32 v170, 0                                      // 000000002DA0: 7F540280
	v_mov_b32_e32 v107, 0                                      // 000000002DA4: 7ED60280
	v_mov_b32_e32 v171, 0                                      // 000000002DA8: 7F560280
	v_mov_b32_e32 v108, 0                                      // 000000002DAC: 7ED80280
	v_mov_b32_e32 v172, 0                                      // 000000002DB0: 7F580280
	v_mov_b32_e32 v109, 0                                      // 000000002DB4: 7EDA0280
	v_mov_b32_e32 v173, 0                                      // 000000002DB8: 7F5A0280
	v_mov_b32_e32 v110, 0                                      // 000000002DBC: 7EDC0280
	v_mov_b32_e32 v174, 0                                      // 000000002DC0: 7F5C0280
	v_mov_b32_e32 v111, 0                                      // 000000002DC4: 7EDE0280
	v_mov_b32_e32 v175, 0                                      // 000000002DC8: 7F5E0280
	v_mov_b32_e32 v112, 0                                      // 000000002DCC: 7EE00280
	v_mov_b32_e32 v176, 0                                      // 000000002DD0: 7F600280
	v_mov_b32_e32 v113, 0                                      // 000000002DD4: 7EE20280
	v_mov_b32_e32 v177, 0                                      // 000000002DD8: 7F620280
	v_mov_b32_e32 v114, 0                                      // 000000002DDC: 7EE40280
	v_mov_b32_e32 v178, 0                                      // 000000002DE0: 7F640280
	v_mov_b32_e32 v115, 0                                      // 000000002DE4: 7EE60280
	v_mov_b32_e32 v179, 0                                      // 000000002DE8: 7F660280
	v_mov_b32_e32 v116, 0                                      // 000000002DEC: 7EE80280
	v_mov_b32_e32 v180, 0                                      // 000000002DF0: 7F680280
	v_mov_b32_e32 v117, 0                                      // 000000002DF4: 7EEA0280
	v_mov_b32_e32 v181, 0                                      // 000000002DF8: 7F6A0280
	v_mov_b32_e32 v118, 0                                      // 000000002DFC: 7EEC0280
	v_mov_b32_e32 v182, 0                                      // 000000002E00: 7F6C0280
	v_mov_b32_e32 v119, 0                                      // 000000002E04: 7EEE0280
	v_mov_b32_e32 v183, 0                                      // 000000002E08: 7F6E0280
	v_mov_b32_e32 v120, 0                                      // 000000002E0C: 7EF00280
	v_mov_b32_e32 v184, 0                                      // 000000002E10: 7F700280
	v_mov_b32_e32 v121, 0                                      // 000000002E14: 7EF20280
	v_mov_b32_e32 v185, 0                                      // 000000002E18: 7F720280
	v_mov_b32_e32 v122, 0                                      // 000000002E1C: 7EF40280
	v_mov_b32_e32 v186, 0                                      // 000000002E20: 7F740280
	v_mov_b32_e32 v123, 0                                      // 000000002E24: 7EF60280
	v_mov_b32_e32 v187, 0                                      // 000000002E28: 7F760280
	v_mov_b32_e32 v124, 0                                      // 000000002E2C: 7EF80280
	v_mov_b32_e32 v188, 0                                      // 000000002E30: 7F780280
	v_mov_b32_e32 v125, 0                                      // 000000002E34: 7EFA0280
	v_mov_b32_e32 v189, 0                                      // 000000002E38: 7F7A0280
	v_mov_b32_e32 v126, 0                                      // 000000002E3C: 7EFC0280
	v_mov_b32_e32 v190, 0                                      // 000000002E40: 7F7C0280
	v_mov_b32_e32 v127, 0                                      // 000000002E44: 7EFE0280
	v_mov_b32_e32 v191, 0                                      // 000000002E48: 7F7E0280
	v_mov_b32_e32 v128, 0                                      // 000000002E4C: 7F000280
	v_mov_b32_e32 v192, 0                                      // 000000002E50: 7F800280
	v_mov_b32_e32 v129, 0                                      // 000000002E54: 7F020280
	v_mov_b32_e32 v193, 0                                      // 000000002E58: 7F820280
	v_mov_b32_e32 v130, 0                                      // 000000002E5C: 7F040280
	v_mov_b32_e32 v194, 0                                      // 000000002E60: 7F840280
	v_mov_b32_e32 v131, 0                                      // 000000002E64: 7F060280
	v_mov_b32_e32 v195, 0                                      // 000000002E68: 7F860280
	v_mov_b32_e32 v132, 0                                      // 000000002E6C: 7F080280
	v_mov_b32_e32 v196, 0                                      // 000000002E70: 7F880280
	v_mov_b32_e32 v133, 0                                      // 000000002E74: 7F0A0280
	v_mov_b32_e32 v197, 0                                      // 000000002E78: 7F8A0280
	v_mov_b32_e32 v134, 0                                      // 000000002E7C: 7F0C0280
	v_mov_b32_e32 v198, 0                                      // 000000002E80: 7F8C0280
	v_mov_b32_e32 v135, 0                                      // 000000002E84: 7F0E0280
	v_mov_b32_e32 v199, 0                                      // 000000002E88: 7F8E0280
	v_mov_b32_e32 v136, 0                                      // 000000002E8C: 7F100280
	v_mov_b32_e32 v200, 0                                      // 000000002E90: 7F900280
	v_mov_b32_e32 v137, 0                                      // 000000002E94: 7F120280
	v_mov_b32_e32 v201, 0                                      // 000000002E98: 7F920280
	v_mov_b32_e32 v138, 0                                      // 000000002E9C: 7F140280
	v_mov_b32_e32 v202, 0                                      // 000000002EA0: 7F940280
	v_mov_b32_e32 v139, 0                                      // 000000002EA4: 7F160280
	v_mov_b32_e32 v203, 0                                      // 000000002EA8: 7F960280
	v_mov_b32_e32 v140, 0                                      // 000000002EAC: 7F180280
	v_mov_b32_e32 v204, 0                                      // 000000002EB0: 7F980280
	v_mov_b32_e32 v141, 0                                      // 000000002EB4: 7F1A0280
	v_mov_b32_e32 v205, 0                                      // 000000002EB8: 7F9A0280
	v_mov_b32_e32 v142, 0                                      // 000000002EBC: 7F1C0280
	v_mov_b32_e32 v206, 0                                      // 000000002EC0: 7F9C0280
	v_mov_b32_e32 v143, 0                                      // 000000002EC4: 7F1E0280
	v_mov_b32_e32 v207, 0                                      // 000000002EC8: 7F9E0280
	s_mul_i32 s60, s2, 0x100                                   // 000000002ECC: 923CFF02 00000100
	s_cmp_eq_u32 s88, 0                                        // 000000002ED4: BF068058
	s_cselect_b32 s61, 1, 2                                    // 000000002ED8: 853D8281
	s_mul_i32 s60, s60, s61                                    // 000000002EDC: 923C3D3C
	s_mov_b32 s90, s8                                          // 000000002EE0: BEDA0008
	s_mov_b32 s91, s9                                          // 000000002EE4: BEDB0009
	s_add_u32 s8, s60, s8                                      // 000000002EE8: 8008083C
	s_addc_u32 s9, 0, s9                                       // 000000002EEC: 82090980
	v_lshrrev_b32_e32 v4, 4, v0                                // 000000002EF0: 20080084
	v_mul_lo_u32 v20, 34, v4                                   // 000000002EF4: D2850014 000208A2
	v_and_b32_e32 v4, 15, v0                                   // 000000002EFC: 2608008F
	v_mul_lo_u32 v5, 2, v4                                     // 000000002F00: D2850005 00020882
	v_add_u32_e32 v20, v5, v20                                 // 000000002F08: 68282905
	s_mul_i32 s60, s7, 0x88                                    // 000000002F0C: 923CFF07 00000088
	v_add_u32_e32 v20, s60, v20                                // 000000002F14: 6828283C
	v_lshlrev_b32_e32 v20, 2, v20                              // 000000002F18: 24282882
	v_and_b32_e32 v4, 31, v0                                   // 000000002F1C: 2608009F
	v_lshrrev_b32_e32 v4, 1, v4                                // 000000002F20: 20080881
	v_mul_lo_u32 v21, 34, v4                                   // 000000002F24: D2850015 000208A2
	v_lshrrev_b32_e32 v4, 5, v0                                // 000000002F2C: 20080085
	v_mul_lo_u32 v4, 8, v4                                     // 000000002F30: D2850004 00020888
	v_add_u32_e32 v21, v21, v4                                 // 000000002F38: 682A0915
	v_and_b32_e32 v5, 1, v0                                    // 000000002F3C: 260A0081
	v_add_u32_e32 v21, v5, v21                                 // 000000002F40: 682A2B05
	s_mul_i32 s60, s7, 2                                       // 000000002F44: 923C8207
	v_add_u32_e32 v21, s60, v21                                // 000000002F48: 682A2A3C
	v_lshlrev_b32_e32 v21, 2, v21                              // 000000002F4C: 242A2A82
	s_mul_i32 s60, s7, 0x1020                                  // 000000002F50: 923CFF07 00001020
	s_add_u32 s48, 0, s60                                      // 000000002F58: 80303C80
	s_add_u32 s49, 0x4080, s48                                 // 000000002F5C: 803130FF 00004080
	s_add_u32 s50, 0x4080, s49                                 // 000000002F64: 803231FF 00004080
	v_lshrrev_b32_e32 v4, 4, v0                                // 000000002F6C: 20080084
	v_lshlrev_b32_e32 v5, 2, v4                                // 000000002F70: 240A0882
	v_and_b32_e32 v4, 15, v0                                   // 000000002F74: 2608008F
	v_lshrrev_b32_e32 v6, 2, v4                                // 000000002F78: 200C0882
	v_lshlrev_b32_e32 v6, 5, v6                                // 000000002F7C: 240C0C85
	v_add_u32_e32 v5, v6, v5                                   // 000000002F80: 680A0B06
	v_and_b32_e32 v4, 3, v0                                    // 000000002F84: 26080083
	v_mul_u32_u24_e32 v6, 0x408, v4                            // 000000002F88: 100C08FF 00000408
	v_add_u32_e32 v5, v6, v5                                   // 000000002F90: 680A0B06
	v_lshlrev_b32_e32 v2, 2, v5                                // 000000002F94: 24040A82
	s_waitcnt lgkmcnt(0)                                       // 000000002F98: BF8CC07F
	s_mul_i32 s60, s2, 0x80                                    // 000000002F9C: 923CFF02 00000080
	s_mul_i32 s60, s60, s69                                    // 000000002FA4: 923C453C
	s_mul_i32 s61, s5, s72                                     // 000000002FA8: 923D4805
	s_add_u32 s60, s61, s60                                    // 000000002FAC: 803C3C3D
	s_add_u32 s24, s60, s24                                    // 000000002FB0: 8018183C
	s_addc_u32 s25, 0, s25                                     // 000000002FB4: 82191980
	s_lshr_b32 s60, s64, s88                                   // 000000002FB8: 8F3C5840
	s_mul_i32 s60, s4, s60                                     // 000000002FBC: 923C3C04
	s_lshr_b32 s60, s60, 7                                     // 000000002FC0: 8F3C873C
	s_mul_i32 s60, s60, 0x800                                  // 000000002FC4: 923CFF3C 00000800
	s_add_u32 s24, s60, s24                                    // 000000002FCC: 8018183C
	s_addc_u32 s25, 0, s25                                     // 000000002FD0: 82191980
	s_lshr_b32 s60, s69, s88                                   // 000000002FD4: 8F3C5845
	s_mul_i32 s60, s4, s60                                     // 000000002FD8: 923C3C04
	s_add_u32 s20, s60, s20                                    // 000000002FDC: 8014143C
	s_addc_u32 s21, 0, s21                                     // 000000002FE0: 82151580
	s_mul_i32 s60, s7, 16                                      // 000000002FE4: 923C9007
	s_mul_i32 s60, s60, s69                                    // 000000002FE8: 923C453C
	v_lshlrev_b32_e32 v78, 4, v0                               // 000000002FEC: 249C0084
	v_add_u32_e32 v78, s60, v78                                // 000000002FF0: 689C9C3C
	s_mul_i32 s60, 64, s69                                     // 000000002FF4: 923C45C0
	v_add_u32_e32 v79, s60, v78                                // 000000002FF8: 689E9C3C
	s_mov_b32 s84, s24                                         // 000000002FFC: BED40018
	s_mov_b32 s85, s25                                         // 000000003000: BED50019
	s_mov_b32 s86, s26                                         // 000000003004: BED6001A
	s_mov_b32 s87, s27                                         // 000000003008: BED7001B
	s_mul_i32 s60, s69, s65                                    // 00000000300C: 923C4145
	s_add_u32 s84, s60, s84                                    // 000000003010: 8054543C
	s_addc_u32 s85, 0, s85                                     // 000000003014: 82555580
	v_lshrrev_b32_e32 v4, 4, v0                                // 000000003018: 20080084
	v_lshlrev_b32_e32 v5, 2, v4                                // 00000000301C: 240A0882
	v_and_b32_e32 v4, 15, v0                                   // 000000003020: 2608008F
	v_lshrrev_b32_e32 v6, 2, v4                                // 000000003024: 200C0882
	v_lshlrev_b32_e32 v6, 6, v6                                // 000000003028: 240C0C86
	v_add_u32_e32 v5, v6, v5                                   // 00000000302C: 680A0B06
	v_and_b32_e32 v4, 3, v0                                    // 000000003030: 26080083
	v_add_u32_e32 v5, v4, v5                                   // 000000003034: 680A0B04
	v_lshlrev_b32_e32 v22, 2, v5                               // 000000003038: 242C0A82
	s_mul_i32 s60, s7, 16                                      // 00000000303C: 923C9007
	s_mul_i32 s60, s60, 4                                      // 000000003040: 923C843C
	v_add_u32_e32 v22, s60, v22                                // 000000003044: 682C2C3C
	s_mul_i32 s60, s2, 0x80                                    // 000000003048: 923CFF02 00000080
	s_mul_i32 s60, s60, 4                                      // 000000003050: 923C843C
	s_mul_i32 s61, s5, s74                                     // 000000003054: 923D4A05
	s_add_u32 s61, s61, s60                                    // 000000003058: 803D3C3D
	s_add_u32 s32, s61, s32                                    // 00000000305C: 8020203D
	s_addc_u32 s33, 0, s33                                     // 000000003060: 82212180
	s_mov_b32 s57, 0x80                                        // 000000003064: BEB900FF 00000080
	s_mov_b32 s58, 0x800                                       // 00000000306C: BEBA00FF 00000800
	s_mov_b32 s83, s58                                         // 000000003074: BED3003A
	s_mov_b32 s52, 0x7060302                                   // 000000003078: BEB400FF 07060302
	s_mov_b32 s53, 0x400                                       // 000000003080: BEB500FF 00000400
	s_mov_b32 s54, 0x40100                                     // 000000003088: BEB600FF 00040100
	s_mov_b32 s55, 0x4020100                                   // 000000003090: BEB700FF 04020100
	s_mov_b32 s6, 0x3fb8aa3b                                   // 000000003098: BE8600FF 3FB8AA3B
	s_mov_b32 s78, 0xbd92220c                                  // 0000000030A0: BECE00FF BD92220C
	s_mov_b32 s79, 0xbd92220c                                  // 0000000030A8: BECF00FF BD92220C
	s_mov_b32 m0, s48                                          // 0000000030B0: BEFC0030
	v_mov_b32_e32 v1, 0xbfcc4231                               // 0000000030B4: 7E0202FF BFCC4231
	v_mov_b32_e32 v17, 0xffff0000                              // 0000000030BC: 7E2202FF FFFF0000
	v_mov_b32_e32 v18, 0x7fff0000                              // 0000000030C4: 7E2402FF 7FFF0000
	v_mov_b32_e32 v19, 0x7fff                                  // 0000000030CC: 7E2602FF 00007FFF
	s_waitcnt vmcnt(0) expcnt(0) lgkmcnt(0)                    // 0000000030D4: BF8C0000
	s_mul_i32 s60, s3, 0x80                                    // 0000000030D8: 923CFF03 00000080
	s_mul_i32 s60, 4, s60                                      // 0000000030E0: 923C3C84
	s_add_u32 s40, s60, s40                                    // 0000000030E4: 8028283C
	s_addc_u32 s41, 0, s41                                     // 0000000030E8: 82292980
	v_and_b32_e32 v4, 15, v0                                   // 0000000030EC: 2608008F
	v_lshlrev_b32_e32 v4, 2, v4                                // 0000000030F0: 24080882
	buffer_load_dword v208, v4, s[40:43], 0 offen              // 0000000030F4: E0501000 800AD004
	buffer_load_dword v209, v4, s[40:43], 0 offen offset:64    // 0000000030FC: E0501040 800AD104
	buffer_load_dword v210, v4, s[40:43], 0 offen offset:128   // 000000003104: E0501080 800AD204
	buffer_load_dword v211, v4, s[40:43], 0 offen offset:192   // 00000000310C: E05010C0 800AD304
	buffer_load_dword v212, v4, s[40:43], 0 offen offset:256   // 000000003114: E0501100 800AD404
	buffer_load_dword v213, v4, s[40:43], 0 offen offset:320   // 00000000311C: E0501140 800AD504
	buffer_load_dword v214, v4, s[40:43], 0 offen offset:384   // 000000003124: E0501180 800AD604
	buffer_load_dword v215, v4, s[40:43], 0 offen offset:448   // 00000000312C: E05011C0 800AD704
	v_lshrrev_b32_e32 v4, 5, v0                                // 000000003134: 20080085
	v_xor_b32_e32 v5, 1, v4                                    // 000000003138: 2A0A0881
	v_readlane_b32 s82, v3, 0                                  // 00000000313C: D2890052 00010103
	s_and_b32 s82, s82, 0xffffff                               // 000000003144: 8652FF52 00FFFFFF
	v_mul_lo_u32 v6, v5, s82                                   // 00000000314C: D2850006 0000A505
	v_readlane_b32 s82, v3, 1                                  // 000000003154: D2890052 00010303
	s_and_b32 s82, s82, 0xffffff                               // 00000000315C: 8652FF52 00FFFFFF
	v_mul_lo_u32 v7, v4, s82                                   // 000000003164: D2850007 0000A504
	v_add_u32_e32 v62, v6, v7                                  // 00000000316C: 687C0F06
	v_mul_lo_u32 v62, v62, s68                                 // 000000003170: D285003E 0000893E
	v_readlane_b32 s82, v3, 2                                  // 000000003178: D2890052 00010503
	s_and_b32 s82, s82, 0xffffff                               // 000000003180: 8652FF52 00FFFFFF
	v_mul_lo_u32 v6, v5, s82                                   // 000000003188: D2850006 0000A505
	v_readlane_b32 s82, v3, 3                                  // 000000003190: D2890052 00010703
	s_and_b32 s82, s82, 0xffffff                               // 000000003198: 8652FF52 00FFFFFF
	v_mul_lo_u32 v7, v4, s82                                   // 0000000031A0: D2850007 0000A504
	v_add_u32_e32 v63, v6, v7                                  // 0000000031A8: 687E0F06
	v_mul_lo_u32 v63, v63, s68                                 // 0000000031AC: D285003F 0000893F
	v_readlane_b32 s82, v3, 4                                  // 0000000031B4: D2890052 00010903
	s_and_b32 s82, s82, 0xffffff                               // 0000000031BC: 8652FF52 00FFFFFF
	v_mul_lo_u32 v6, v5, s82                                   // 0000000031C4: D2850006 0000A505
	v_readlane_b32 s82, v3, 5                                  // 0000000031CC: D2890052 00010B03
	s_and_b32 s82, s82, 0xffffff                               // 0000000031D4: 8652FF52 00FFFFFF
	v_mul_lo_u32 v7, v4, s82                                   // 0000000031DC: D2850007 0000A504
	v_add_u32_e32 v64, v6, v7                                  // 0000000031E4: 68800F06
	v_mul_lo_u32 v64, v64, s68                                 // 0000000031E8: D2850040 00008940
	v_readlane_b32 s82, v3, 6                                  // 0000000031F0: D2890052 00010D03
	s_and_b32 s82, s82, 0xffffff                               // 0000000031F8: 8652FF52 00FFFFFF
	v_mul_lo_u32 v6, v5, s82                                   // 000000003200: D2850006 0000A505
	v_readlane_b32 s82, v3, 7                                  // 000000003208: D2890052 00010F03
	s_and_b32 s82, s82, 0xffffff                               // 000000003210: 8652FF52 00FFFFFF
	v_mul_lo_u32 v7, v4, s82                                   // 000000003218: D2850007 0000A504
	v_add_u32_e32 v65, v6, v7                                  // 000000003220: 68820F06
	v_mul_lo_u32 v65, v65, s68                                 // 000000003224: D2850041 00008941
	v_readlane_b32 s82, v3, 8                                  // 00000000322C: D2890052 00011103
	s_and_b32 s82, s82, 0xffffff                               // 000000003234: 8652FF52 00FFFFFF
	v_mul_lo_u32 v6, v5, s82                                   // 00000000323C: D2850006 0000A505
	v_readlane_b32 s82, v3, 9                                  // 000000003244: D2890052 00011303
	s_and_b32 s82, s82, 0xffffff                               // 00000000324C: 8652FF52 00FFFFFF
	v_mul_lo_u32 v7, v4, s82                                   // 000000003254: D2850007 0000A504
	v_add_u32_e32 v66, v6, v7                                  // 00000000325C: 68840F06
	v_mul_lo_u32 v66, v66, s68                                 // 000000003260: D2850042 00008942
	v_readlane_b32 s82, v3, 10                                 // 000000003268: D2890052 00011503
	s_and_b32 s82, s82, 0xffffff                               // 000000003270: 8652FF52 00FFFFFF
	v_mul_lo_u32 v6, v5, s82                                   // 000000003278: D2850006 0000A505
	v_readlane_b32 s82, v3, 11                                 // 000000003280: D2890052 00011703
	s_and_b32 s82, s82, 0xffffff                               // 000000003288: 8652FF52 00FFFFFF
	v_mul_lo_u32 v7, v4, s82                                   // 000000003290: D2850007 0000A504
	v_add_u32_e32 v67, v6, v7                                  // 000000003298: 68860F06
	v_mul_lo_u32 v67, v67, s68                                 // 00000000329C: D2850043 00008943
	v_readlane_b32 s82, v3, 12                                 // 0000000032A4: D2890052 00011903
	s_and_b32 s82, s82, 0xffffff                               // 0000000032AC: 8652FF52 00FFFFFF
	v_mul_lo_u32 v6, v5, s82                                   // 0000000032B4: D2850006 0000A505
	v_readlane_b32 s82, v3, 13                                 // 0000000032BC: D2890052 00011B03
	s_and_b32 s82, s82, 0xffffff                               // 0000000032C4: 8652FF52 00FFFFFF
	v_mul_lo_u32 v7, v4, s82                                   // 0000000032CC: D2850007 0000A504
	v_add_u32_e32 v68, v6, v7                                  // 0000000032D4: 68880F06
	v_mul_lo_u32 v68, v68, s68                                 // 0000000032D8: D2850044 00008944
	v_readlane_b32 s82, v3, 14                                 // 0000000032E0: D2890052 00011D03
	s_and_b32 s82, s82, 0xffffff                               // 0000000032E8: 8652FF52 00FFFFFF
	v_mul_lo_u32 v6, v5, s82                                   // 0000000032F0: D2850006 0000A505
	v_readlane_b32 s82, v3, 15                                 // 0000000032F8: D2890052 00011F03
	s_and_b32 s82, s82, 0xffffff                               // 000000003300: 8652FF52 00FFFFFF
	v_mul_lo_u32 v7, v4, s82                                   // 000000003308: D2850007 0000A504
	v_add_u32_e32 v69, v6, v7                                  // 000000003310: 688A0F06
	v_mul_lo_u32 v69, v69, s68                                 // 000000003314: D2850045 00008945
	v_readlane_b32 s82, v3, 16                                 // 00000000331C: D2890052 00012103
	s_and_b32 s82, s82, 0xffffff                               // 000000003324: 8652FF52 00FFFFFF
	v_mul_lo_u32 v6, v5, s82                                   // 00000000332C: D2850006 0000A505
	v_readlane_b32 s82, v3, 17                                 // 000000003334: D2890052 00012303
	s_and_b32 s82, s82, 0xffffff                               // 00000000333C: 8652FF52 00FFFFFF
	v_mul_lo_u32 v7, v4, s82                                   // 000000003344: D2850007 0000A504
	v_add_u32_e32 v70, v6, v7                                  // 00000000334C: 688C0F06
	v_mul_lo_u32 v70, v70, s68                                 // 000000003350: D2850046 00008946
	v_readlane_b32 s82, v3, 18                                 // 000000003358: D2890052 00012503
	s_and_b32 s82, s82, 0xffffff                               // 000000003360: 8652FF52 00FFFFFF
	v_mul_lo_u32 v6, v5, s82                                   // 000000003368: D2850006 0000A505
	v_readlane_b32 s82, v3, 19                                 // 000000003370: D2890052 00012703
	s_and_b32 s82, s82, 0xffffff                               // 000000003378: 8652FF52 00FFFFFF
	v_mul_lo_u32 v7, v4, s82                                   // 000000003380: D2850007 0000A504
	v_add_u32_e32 v71, v6, v7                                  // 000000003388: 688E0F06
	v_mul_lo_u32 v71, v71, s68                                 // 00000000338C: D2850047 00008947
	v_readlane_b32 s82, v3, 20                                 // 000000003394: D2890052 00012903
	s_and_b32 s82, s82, 0xffffff                               // 00000000339C: 8652FF52 00FFFFFF
	v_mul_lo_u32 v6, v5, s82                                   // 0000000033A4: D2850006 0000A505
	v_readlane_b32 s82, v3, 21                                 // 0000000033AC: D2890052 00012B03
	s_and_b32 s82, s82, 0xffffff                               // 0000000033B4: 8652FF52 00FFFFFF
	v_mul_lo_u32 v7, v4, s82                                   // 0000000033BC: D2850007 0000A504
	v_add_u32_e32 v72, v6, v7                                  // 0000000033C4: 68900F06
	v_mul_lo_u32 v72, v72, s68                                 // 0000000033C8: D2850048 00008948
	v_readlane_b32 s82, v3, 22                                 // 0000000033D0: D2890052 00012D03
	s_and_b32 s82, s82, 0xffffff                               // 0000000033D8: 8652FF52 00FFFFFF
	v_mul_lo_u32 v6, v5, s82                                   // 0000000033E0: D2850006 0000A505
	v_readlane_b32 s82, v3, 23                                 // 0000000033E8: D2890052 00012F03
	s_and_b32 s82, s82, 0xffffff                               // 0000000033F0: 8652FF52 00FFFFFF
	v_mul_lo_u32 v7, v4, s82                                   // 0000000033F8: D2850007 0000A504
	v_add_u32_e32 v73, v6, v7                                  // 000000003400: 68920F06
	v_mul_lo_u32 v73, v73, s68                                 // 000000003404: D2850049 00008949
	v_readlane_b32 s82, v3, 24                                 // 00000000340C: D2890052 00013103
	s_and_b32 s82, s82, 0xffffff                               // 000000003414: 8652FF52 00FFFFFF
	v_mul_lo_u32 v6, v5, s82                                   // 00000000341C: D2850006 0000A505
	v_readlane_b32 s82, v3, 25                                 // 000000003424: D2890052 00013303
	s_and_b32 s82, s82, 0xffffff                               // 00000000342C: 8652FF52 00FFFFFF
	v_mul_lo_u32 v7, v4, s82                                   // 000000003434: D2850007 0000A504
	v_add_u32_e32 v74, v6, v7                                  // 00000000343C: 68940F06
	v_mul_lo_u32 v74, v74, s68                                 // 000000003440: D285004A 0000894A
	v_readlane_b32 s82, v3, 26                                 // 000000003448: D2890052 00013503
	s_and_b32 s82, s82, 0xffffff                               // 000000003450: 8652FF52 00FFFFFF
	v_mul_lo_u32 v6, v5, s82                                   // 000000003458: D2850006 0000A505
	v_readlane_b32 s82, v3, 27                                 // 000000003460: D2890052 00013703
	s_and_b32 s82, s82, 0xffffff                               // 000000003468: 8652FF52 00FFFFFF
	v_mul_lo_u32 v7, v4, s82                                   // 000000003470: D2850007 0000A504
	v_add_u32_e32 v75, v6, v7                                  // 000000003478: 68960F06
	v_mul_lo_u32 v75, v75, s68                                 // 00000000347C: D285004B 0000894B
	v_readlane_b32 s82, v3, 28                                 // 000000003484: D2890052 00013903
	s_and_b32 s82, s82, 0xffffff                               // 00000000348C: 8652FF52 00FFFFFF
	v_mul_lo_u32 v6, v5, s82                                   // 000000003494: D2850006 0000A505
	v_readlane_b32 s82, v3, 29                                 // 00000000349C: D2890052 00013B03
	s_and_b32 s82, s82, 0xffffff                               // 0000000034A4: 8652FF52 00FFFFFF
	v_mul_lo_u32 v7, v4, s82                                   // 0000000034AC: D2850007 0000A504
	v_add_u32_e32 v76, v6, v7                                  // 0000000034B4: 68980F06
	v_mul_lo_u32 v76, v76, s68                                 // 0000000034B8: D285004C 0000894C
	v_readlane_b32 s82, v3, 30                                 // 0000000034C0: D2890052 00013D03
	s_and_b32 s82, s82, 0xffffff                               // 0000000034C8: 8652FF52 00FFFFFF
	v_mul_lo_u32 v6, v5, s82                                   // 0000000034D0: D2850006 0000A505
	v_readlane_b32 s82, v3, 31                                 // 0000000034D8: D2890052 00013F03
	s_and_b32 s82, s82, 0xffffff                               // 0000000034E0: 8652FF52 00FFFFFF
	v_mul_lo_u32 v7, v4, s82                                   // 0000000034E8: D2850007 0000A504
	v_add_u32_e32 v77, v6, v7                                  // 0000000034F0: 689A0F06
	v_mul_lo_u32 v77, v77, s68                                 // 0000000034F4: D285004D 0000894D
	v_and_b32_e32 v4, 31, v0                                   // 0000000034FC: 2608009F
	v_lshlrev_b32_e32 v4, 2, v4                                // 000000003500: 24080882
	v_add_u32_e32 v62, v62, v4                                 // 000000003504: 687C093E
	v_add_u32_e32 v63, v63, v4                                 // 000000003508: 687E093F
	v_add_u32_e32 v64, v64, v4                                 // 00000000350C: 68800940
	v_add_u32_e32 v65, v65, v4                                 // 000000003510: 68820941
	v_add_u32_e32 v66, v66, v4                                 // 000000003514: 68840942
	;; [unrolled: 1-line block ×3, first 2 shown]
	v_add_u32_e32 v68, v68, v4                                 // 00000000351C: 68880944
	v_add_u32_e32 v69, v69, v4                                 // 000000003520: 688A0945
	v_add_u32_e32 v70, v70, v4                                 // 000000003524: 688C0946
	v_add_u32_e32 v71, v71, v4                                 // 000000003528: 688E0947
	v_add_u32_e32 v72, v72, v4                                 // 00000000352C: 68900948
	v_add_u32_e32 v73, v73, v4                                 // 000000003530: 68920949
	v_add_u32_e32 v74, v74, v4                                 // 000000003534: 6894094A
	v_add_u32_e32 v75, v75, v4                                 // 000000003538: 6896094B
	v_add_u32_e32 v76, v76, v4                                 // 00000000353C: 6898094C
	v_add_u32_e32 v77, v77, v4                                 // 000000003540: 689A094D
	v_and_b32_e32 v30, 0xffffff, v30                           // 000000003544: 263C3CFF 00FFFFFF
	v_lshlrev_b32_e32 v30, 2, v30                              // 00000000354C: 243C3C82
	v_and_b32_e32 v31, 0xffffff, v31                           // 000000003550: 263E3EFF 00FFFFFF
	v_lshlrev_b32_e32 v31, 2, v31                              // 000000003558: 243E3E82
	v_and_b32_e32 v32, 0xffffff, v32                           // 00000000355C: 264040FF 00FFFFFF
	v_lshlrev_b32_e32 v32, 2, v32                              // 000000003564: 24404082
	v_and_b32_e32 v33, 0xffffff, v33                           // 000000003568: 264242FF 00FFFFFF
	v_lshlrev_b32_e32 v33, 2, v33                              // 000000003570: 24424282
	v_and_b32_e32 v34, 0xffffff, v34                           // 000000003574: 264444FF 00FFFFFF
	v_lshlrev_b32_e32 v34, 2, v34                              // 00000000357C: 24444482
	v_and_b32_e32 v35, 0xffffff, v35                           // 000000003580: 264646FF 00FFFFFF
	v_lshlrev_b32_e32 v35, 2, v35                              // 000000003588: 24464682
	v_and_b32_e32 v36, 0xffffff, v36                           // 00000000358C: 264848FF 00FFFFFF
	v_lshlrev_b32_e32 v36, 2, v36                              // 000000003594: 24484882
	v_and_b32_e32 v37, 0xffffff, v37                           // 000000003598: 264A4AFF 00FFFFFF
	v_lshlrev_b32_e32 v37, 2, v37                              // 0000000035A0: 244A4A82
	s_lshl_b32 s3, s66, 2                                      // 0000000035A4: 8E038242
	buffer_load_dword v38, v30, s[28:31], 0 offen              // 0000000035A8: E0501000 8007261E
	buffer_load_dword v39, v31, s[28:31], 0 offen              // 0000000035B0: E0501000 8007271F
	buffer_load_dword v40, v32, s[28:31], 0 offen              // 0000000035B8: E0501000 80072820
	buffer_load_dword v41, v33, s[28:31], 0 offen              // 0000000035C0: E0501000 80072921
	buffer_load_dword v42, v34, s[28:31], 0 offen              // 0000000035C8: E0501000 80072A22
	buffer_load_dword v43, v35, s[28:31], 0 offen              // 0000000035D0: E0501000 80072B23
	buffer_load_dword v44, v36, s[28:31], 0 offen              // 0000000035D8: E0501000 80072C24
	buffer_load_dword v45, v37, s[28:31], 0 offen              // 0000000035E0: E0501000 80072D25
	buffer_load_dword v24, v22, s[32:35], 0 offen              // 0000000035E8: E0501000 80081816
	s_mul_i32 s60, 4, s65                                      // 0000000035F0: 923C4184
	s_add_u32 s32, s60, s32                                    // 0000000035F4: 8020203C
	s_addc_u32 s33, 0, s33                                     // 0000000035F8: 82212180
	buffer_load_dword v27, v22, s[32:35], 0 offen              // 0000000035FC: E0501000 80081B16
	buffer_load_dword v62, s[20:23], 0 offen lds               // 000000003604: E0511000 8005003E
	s_add_u32 m0, 0x100, s48                                   // 00000000360C: 807C30FF 00000100
	buffer_load_dword v63, s[20:23], 0 offen lds               // 000000003614: E0511000 8005003F
	s_add_u32 m0, 0x200, s48                                   // 00000000361C: 807C30FF 00000200
	buffer_load_dword v64, s[20:23], 0 offen lds               // 000000003624: E0511000 80050040
	s_add_u32 m0, 0x300, s48                                   // 00000000362C: 807C30FF 00000300
	buffer_load_dword v65, s[20:23], 0 offen lds               // 000000003634: E0511000 80050041
	s_add_u32 m0, 0x400, s48                                   // 00000000363C: 807C30FF 00000400
	buffer_load_dword v66, s[20:23], 0 offen lds               // 000000003644: E0511000 80050042
	s_add_u32 m0, 0x500, s48                                   // 00000000364C: 807C30FF 00000500
	buffer_load_dword v67, s[20:23], 0 offen lds               // 000000003654: E0511000 80050043
	s_add_u32 m0, 0x600, s48                                   // 00000000365C: 807C30FF 00000600
	buffer_load_dword v68, s[20:23], 0 offen lds               // 000000003664: E0511000 80050044
	s_add_u32 m0, 0x700, s48                                   // 00000000366C: 807C30FF 00000700
	buffer_load_dword v69, s[20:23], 0 offen lds               // 000000003674: E0511000 80050045
	s_add_u32 m0, 0x800, s48                                   // 00000000367C: 807C30FF 00000800
	buffer_load_dword v70, s[20:23], 0 offen lds               // 000000003684: E0511000 80050046
	s_add_u32 m0, 0x900, s48                                   // 00000000368C: 807C30FF 00000900
	buffer_load_dword v71, s[20:23], 0 offen lds               // 000000003694: E0511000 80050047
	s_add_u32 m0, 0xa00, s48                                   // 00000000369C: 807C30FF 00000A00
	buffer_load_dword v72, s[20:23], 0 offen lds               // 0000000036A4: E0511000 80050048
	s_add_u32 m0, 0xb00, s48                                   // 0000000036AC: 807C30FF 00000B00
	buffer_load_dword v73, s[20:23], 0 offen lds               // 0000000036B4: E0511000 80050049
	s_add_u32 m0, 0xc00, s48                                   // 0000000036BC: 807C30FF 00000C00
	buffer_load_dword v74, s[20:23], 0 offen lds               // 0000000036C4: E0511000 8005004A
	s_add_u32 m0, 0xd00, s48                                   // 0000000036CC: 807C30FF 00000D00
	buffer_load_dword v75, s[20:23], 0 offen lds               // 0000000036D4: E0511000 8005004B
	s_add_u32 m0, 0xe00, s48                                   // 0000000036DC: 807C30FF 00000E00
	buffer_load_dword v76, s[20:23], 0 offen lds               // 0000000036E4: E0511000 8005004C
	s_add_u32 m0, 0xf00, s48                                   // 0000000036EC: 807C30FF 00000F00
	buffer_load_dword v77, s[20:23], 0 offen lds               // 0000000036F4: E0511000 8005004D
	s_add_u32 m0, 0, s49                                       // 0000000036FC: 807C3180
	s_add_u32 s20, s57, s20                                    // 000000003700: 80141439
	s_addc_u32 s21, 0, s21                                     // 000000003704: 82151580
	buffer_load_dwordx4 a[128:131], v78, s[24:27], 0 offen     // 000000003708: E05C1000 8086804E
	buffer_load_dwordx4 a[132:135], v78, s[24:27], 0 offen offset:1024// 000000003710: E05C1400 8086844E
	buffer_load_dwordx4 a[136:139], v79, s[24:27], 0 offen     // 000000003718: E05C1000 8086884F
	buffer_load_dwordx4 a[140:143], v79, s[24:27], 0 offen offset:1024// 000000003720: E05C1400 80868C4F
	s_add_u32 s24, s58, s24                                    // 000000003728: 8018183A
	s_addc_u32 s25, 0, s25                                     // 00000000372C: 82191980
	buffer_load_dword v62, s[20:23], 0 offen lds               // 000000003730: E0511000 8005003E
	s_add_u32 m0, 0x100, s49                                   // 000000003738: 807C31FF 00000100
	buffer_load_dword v63, s[20:23], 0 offen lds               // 000000003740: E0511000 8005003F
	s_add_u32 m0, 0x200, s49                                   // 000000003748: 807C31FF 00000200
	buffer_load_dword v64, s[20:23], 0 offen lds               // 000000003750: E0511000 80050040
	s_add_u32 m0, 0x300, s49                                   // 000000003758: 807C31FF 00000300
	buffer_load_dword v65, s[20:23], 0 offen lds               // 000000003760: E0511000 80050041
	;; [unrolled: 2-line block ×5, first 2 shown]
	s_add_u32 m0, 0x700, s49                                   // 000000003798: 807C31FF 00000700
	buffer_load_dword v69, s[20:23], 0 offen lds               // 0000000037A0: E0511000 80050045
	s_add_u32 m0, 0x800, s49                                   // 0000000037A8: 807C31FF 00000800
	buffer_load_dword v70, s[20:23], 0 offen lds               // 0000000037B0: E0511000 80050046
	s_add_u32 m0, 0x900, s49                                   // 0000000037B8: 807C31FF 00000900
	buffer_load_dword v71, s[20:23], 0 offen lds               // 0000000037C0: E0511000 80050047
	s_add_u32 m0, 0xa00, s49                                   // 0000000037C8: 807C31FF 00000A00
	buffer_load_dword v72, s[20:23], 0 offen lds               // 0000000037D0: E0511000 80050048
	s_add_u32 m0, 0xb00, s49                                   // 0000000037D8: 807C31FF 00000B00
	buffer_load_dword v73, s[20:23], 0 offen lds               // 0000000037E0: E0511000 80050049
	s_add_u32 m0, 0xc00, s49                                   // 0000000037E8: 807C31FF 00000C00
	buffer_load_dword v74, s[20:23], 0 offen lds               // 0000000037F0: E0511000 8005004A
	s_add_u32 m0, 0xd00, s49                                   // 0000000037F8: 807C31FF 00000D00
	buffer_load_dword v75, s[20:23], 0 offen lds               // 000000003800: E0511000 8005004B
	s_add_u32 m0, 0xe00, s49                                   // 000000003808: 807C31FF 00000E00
	buffer_load_dword v76, s[20:23], 0 offen lds               // 000000003810: E0511000 8005004C
	s_add_u32 m0, 0xf00, s49                                   // 000000003818: 807C31FF 00000F00
	buffer_load_dword v77, s[20:23], 0 offen lds               // 000000003820: E0511000 8005004D
	s_add_u32 m0, 0, s50                                       // 000000003828: 807C3280
	s_add_u32 s20, s57, s20                                    // 00000000382C: 80141439
	s_addc_u32 s21, 0, s21                                     // 000000003830: 82151580
	buffer_load_dwordx4 a[144:147], v78, s[84:87], 0 offen     // 000000003834: E05C1000 8095904E
	buffer_load_dwordx4 a[148:151], v78, s[84:87], 0 offen offset:1024// 00000000383C: E05C1400 8095944E
	buffer_load_dwordx4 a[152:155], v79, s[84:87], 0 offen     // 000000003844: E05C1000 8095984F
	buffer_load_dwordx4 a[156:159], v79, s[84:87], 0 offen offset:1024// 00000000384C: E05C1400 80959C4F
	s_add_u32 s84, s83, s84                                    // 000000003854: 80545453
	s_addc_u32 s85, 0, s85                                     // 000000003858: 82555580
	s_waitcnt vmcnt(24)                                        // 00000000385C: BF8C4F78
	s_barrier                                                  // 000000003860: BF8A0000
	ds_read_b128 a[0:3], v2                                    // 000000003864: DBFE0000 00000002
	ds_read_b128 a[4:7], v2 offset:64                          // 00000000386C: DBFE0040 04000002
	ds_read_b128 a[8:11], v2 offset:512                        // 000000003874: DBFE0200 08000002
	ds_read_b128 a[12:15], v2 offset:576                       // 00000000387C: DBFE0240 0C000002
	ds_read_b128 a[16:19], v2 offset:1024                      // 000000003884: DBFE0400 10000002
	ds_read_b128 a[20:23], v2 offset:1088                      // 00000000388C: DBFE0440 14000002
	ds_read_b128 a[24:27], v2 offset:1536                      // 000000003894: DBFE0600 18000002
	ds_read_b128 a[28:31], v2 offset:1600                      // 00000000389C: DBFE0640 1C000002
	ds_read_b128 a[32:35], v2 offset:2048                      // 0000000038A4: DBFE0800 20000002
	ds_read_b128 a[36:39], v2 offset:2112                      // 0000000038AC: DBFE0840 24000002
	ds_read_b128 a[40:43], v2 offset:2560                      // 0000000038B4: DBFE0A00 28000002
	ds_read_b128 a[44:47], v2 offset:2624                      // 0000000038BC: DBFE0A40 2C000002
	ds_read_b128 a[48:51], v2 offset:3072                      // 0000000038C4: DBFE0C00 30000002
	ds_read_b128 a[52:55], v2 offset:3136                      // 0000000038CC: DBFE0C40 34000002
	ds_read_b128 a[56:59], v2 offset:3584                      // 0000000038D4: DBFE0E00 38000002
	ds_read_b128 a[60:63], v2 offset:3648                      // 0000000038DC: DBFE0E40 3C000002
	s_cmp_lt_i32 s7, 2                                         // 0000000038E4: BF048207
	s_cbranch_scc0 label_1FEE                                  // 0000000038E8: BF841C30

00000000000038ec <label_03BB>:
	s_waitcnt vmcnt(20) lgkmcnt(0)                             // 0000000038EC: BF8C4074
	v_mfma_f32_16x16x32_fp8_fp8 v[80:83], a[128:129], a[0:1], v[80:83]// 0000000038F0: D3F30050 1D420180
	v_mfma_f32_16x16x32_fp8_fp8 v[80:83], a[130:131], a[2:3], v[80:83]// 0000000038F8: D3F30050 1D420582
	buffer_load_dwordx4 a[160:163], v78, s[24:27], 0 offen     // 000000003900: E05C1000 8086A04E
	v_mfma_f32_16x16x32_fp8_fp8 v[80:83], a[132:133], a[4:5], v[80:83]// 000000003908: D3F30050 1D420984
	v_mfma_f32_16x16x32_fp8_fp8 v[80:83], a[134:135], a[6:7], v[80:83]// 000000003910: D3F30050 1D420D86
	v_mfma_f32_16x16x32_fp8_fp8 v[112:115], a[136:137], a[0:1], v[112:115]// 000000003918: D3F30070 1DC20188
	v_mfma_f32_16x16x32_fp8_fp8 v[112:115], a[138:139], a[2:3], v[112:115]// 000000003920: D3F30070 1DC2058A
	buffer_load_dwordx4 a[164:167], v78, s[24:27], 0 offen offset:1024// 000000003928: E05C1400 8086A44E
	v_mfma_f32_16x16x32_fp8_fp8 v[112:115], a[140:141], a[4:5], v[112:115]// 000000003930: D3F30070 1DC2098C
	v_mfma_f32_16x16x32_fp8_fp8 v[112:115], a[142:143], a[6:7], v[112:115]// 000000003938: D3F30070 1DC20D8E
	v_mfma_f32_16x16x32_fp8_fp8 v[84:87], a[128:129], a[8:9], v[84:87]// 000000003940: D3F30054 1D521180
	v_mfma_f32_16x16x32_fp8_fp8 v[84:87], a[130:131], a[10:11], v[84:87]// 000000003948: D3F30054 1D521582
	buffer_load_dwordx4 a[168:171], v79, s[24:27], 0 offen     // 000000003950: E05C1000 8086A84F
	v_mfma_f32_16x16x32_fp8_fp8 v[84:87], a[132:133], a[12:13], v[84:87]// 000000003958: D3F30054 1D521984
	v_mfma_f32_16x16x32_fp8_fp8 v[84:87], a[134:135], a[14:15], v[84:87]// 000000003960: D3F30054 1D521D86
	v_mfma_f32_16x16x32_fp8_fp8 v[116:119], a[136:137], a[8:9], v[116:119]// 000000003968: D3F30074 1DD21188
	v_mfma_f32_16x16x32_fp8_fp8 v[116:119], a[138:139], a[10:11], v[116:119]// 000000003970: D3F30074 1DD2158A
	buffer_load_dwordx4 a[172:175], v79, s[24:27], 0 offen offset:1024// 000000003978: E05C1400 8086AC4F
	buffer_load_dword v62, s[20:23], 0 offen lds               // 000000003980: E0511000 8005003E
	s_add_u32 m0, 0x100, s50                                   // 000000003988: 807C32FF 00000100
	v_mfma_f32_16x16x32_fp8_fp8 v[116:119], a[140:141], a[12:13], v[116:119]// 000000003990: D3F30074 1DD2198C
	v_mfma_f32_16x16x32_fp8_fp8 v[116:119], a[142:143], a[14:15], v[116:119]// 000000003998: D3F30074 1DD21D8E
	buffer_load_dword v63, s[20:23], 0 offen lds               // 0000000039A0: E0511000 8005003F
	s_add_u32 m0, 0x200, s50                                   // 0000000039A8: 807C32FF 00000200
	v_mfma_f32_16x16x32_fp8_fp8 v[88:91], a[128:129], a[16:17], v[88:91]// 0000000039B0: D3F30058 1D622180
	v_mfma_f32_16x16x32_fp8_fp8 v[88:91], a[130:131], a[18:19], v[88:91]// 0000000039B8: D3F30058 1D622582
	buffer_load_dword v64, s[20:23], 0 offen lds               // 0000000039C0: E0511000 80050040
	s_add_u32 m0, 0x300, s50                                   // 0000000039C8: 807C32FF 00000300
	v_mfma_f32_16x16x32_fp8_fp8 v[88:91], a[132:133], a[20:21], v[88:91]// 0000000039D0: D3F30058 1D622984
	v_mfma_f32_16x16x32_fp8_fp8 v[88:91], a[134:135], a[22:23], v[88:91]// 0000000039D8: D3F30058 1D622D86
	buffer_load_dword v65, s[20:23], 0 offen lds               // 0000000039E0: E0511000 80050041
	s_add_u32 m0, 0x400, s50                                   // 0000000039E8: 807C32FF 00000400
	v_mfma_f32_16x16x32_fp8_fp8 v[120:123], a[136:137], a[16:17], v[120:123]// 0000000039F0: D3F30078 1DE22188
	v_mfma_f32_16x16x32_fp8_fp8 v[120:123], a[138:139], a[18:19], v[120:123]// 0000000039F8: D3F30078 1DE2258A
	buffer_load_dword v66, s[20:23], 0 offen lds               // 000000003A00: E0511000 80050042
	s_add_u32 m0, 0x500, s50                                   // 000000003A08: 807C32FF 00000500
	v_mfma_f32_16x16x32_fp8_fp8 v[120:123], a[140:141], a[20:21], v[120:123]// 000000003A10: D3F30078 1DE2298C
	v_mfma_f32_16x16x32_fp8_fp8 v[120:123], a[142:143], a[22:23], v[120:123]// 000000003A18: D3F30078 1DE22D8E
	buffer_load_dword v67, s[20:23], 0 offen lds               // 000000003A20: E0511000 80050043
	s_add_u32 m0, 0x600, s50                                   // 000000003A28: 807C32FF 00000600
	v_mfma_f32_16x16x32_fp8_fp8 v[92:95], a[128:129], a[24:25], v[92:95]// 000000003A30: D3F3005C 1D723180
	v_mfma_f32_16x16x32_fp8_fp8 v[92:95], a[130:131], a[26:27], v[92:95]// 000000003A38: D3F3005C 1D723582
	buffer_load_dword v68, s[20:23], 0 offen lds               // 000000003A40: E0511000 80050044
	s_add_u32 m0, 0x700, s50                                   // 000000003A48: 807C32FF 00000700
	v_mfma_f32_16x16x32_fp8_fp8 v[92:95], a[132:133], a[28:29], v[92:95]// 000000003A50: D3F3005C 1D723984
	v_mfma_f32_16x16x32_fp8_fp8 v[92:95], a[134:135], a[30:31], v[92:95]// 000000003A58: D3F3005C 1D723D86
	buffer_load_dword v69, s[20:23], 0 offen lds               // 000000003A60: E0511000 80050045
	s_add_u32 m0, 0x800, s50                                   // 000000003A68: 807C32FF 00000800
	v_mfma_f32_16x16x32_fp8_fp8 v[124:127], a[136:137], a[24:25], v[124:127]// 000000003A70: D3F3007C 1DF23188
	v_mfma_f32_16x16x32_fp8_fp8 v[124:127], a[138:139], a[26:27], v[124:127]// 000000003A78: D3F3007C 1DF2358A
	buffer_load_dword v70, s[20:23], 0 offen lds               // 000000003A80: E0511000 80050046
	s_add_u32 m0, 0x900, s50                                   // 000000003A88: 807C32FF 00000900
	v_mfma_f32_16x16x32_fp8_fp8 v[124:127], a[140:141], a[28:29], v[124:127]// 000000003A90: D3F3007C 1DF2398C
	v_mfma_f32_16x16x32_fp8_fp8 v[124:127], a[142:143], a[30:31], v[124:127]// 000000003A98: D3F3007C 1DF23D8E
	buffer_load_dword v71, s[20:23], 0 offen lds               // 000000003AA0: E0511000 80050047
	s_add_u32 m0, 0xa00, s50                                   // 000000003AA8: 807C32FF 00000A00
	v_mfma_f32_16x16x32_fp8_fp8 v[96:99], a[128:129], a[32:33], v[96:99]// 000000003AB0: D3F30060 1D824180
	v_mfma_f32_16x16x32_fp8_fp8 v[96:99], a[130:131], a[34:35], v[96:99]// 000000003AB8: D3F30060 1D824582
	v_mfma_f32_16x16x32_fp8_fp8 v[96:99], a[132:133], a[36:37], v[96:99]// 000000003AC0: D3F30060 1D824984
	v_mfma_f32_16x16x32_fp8_fp8 v[96:99], a[134:135], a[38:39], v[96:99]// 000000003AC8: D3F30060 1D824D86
	v_mfma_f32_16x16x32_fp8_fp8 v[128:131], a[136:137], a[32:33], v[128:131]// 000000003AD0: D3F30080 1E024188
	v_mfma_f32_16x16x32_fp8_fp8 v[128:131], a[138:139], a[34:35], v[128:131]// 000000003AD8: D3F30080 1E02458A
	v_mfma_f32_16x16x32_fp8_fp8 v[128:131], a[140:141], a[36:37], v[128:131]// 000000003AE0: D3F30080 1E02498C
	v_mfma_f32_16x16x32_fp8_fp8 v[128:131], a[142:143], a[38:39], v[128:131]// 000000003AE8: D3F30080 1E024D8E
	v_mfma_f32_16x16x32_fp8_fp8 v[100:103], a[128:129], a[40:41], v[100:103]// 000000003AF0: D3F30064 1D925180
	v_mfma_f32_16x16x32_fp8_fp8 v[100:103], a[130:131], a[42:43], v[100:103]// 000000003AF8: D3F30064 1D925582
	buffer_load_dword v72, s[20:23], 0 offen lds               // 000000003B00: E0511000 80050048
	s_add_u32 m0, 0xb00, s50                                   // 000000003B08: 807C32FF 00000B00
	v_mfma_f32_16x16x32_fp8_fp8 v[100:103], a[132:133], a[44:45], v[100:103]// 000000003B10: D3F30064 1D925984
	v_mfma_f32_16x16x32_fp8_fp8 v[100:103], a[134:135], a[46:47], v[100:103]// 000000003B18: D3F30064 1D925D86
	buffer_load_dword v73, s[20:23], 0 offen lds               // 000000003B20: E0511000 80050049
	s_add_u32 m0, 0xc00, s50                                   // 000000003B28: 807C32FF 00000C00
	v_mfma_f32_16x16x32_fp8_fp8 v[132:135], a[136:137], a[40:41], v[132:135]// 000000003B30: D3F30084 1E125188
	v_mfma_f32_16x16x32_fp8_fp8 v[132:135], a[138:139], a[42:43], v[132:135]// 000000003B38: D3F30084 1E12558A
	buffer_load_dword v74, s[20:23], 0 offen lds               // 000000003B40: E0511000 8005004A
	s_add_u32 m0, 0xd00, s50                                   // 000000003B48: 807C32FF 00000D00
	v_mfma_f32_16x16x32_fp8_fp8 v[132:135], a[140:141], a[44:45], v[132:135]// 000000003B50: D3F30084 1E12598C
	v_mfma_f32_16x16x32_fp8_fp8 v[132:135], a[142:143], a[46:47], v[132:135]// 000000003B58: D3F30084 1E125D8E
	buffer_load_dword v75, s[20:23], 0 offen lds               // 000000003B60: E0511000 8005004B
	s_add_u32 m0, 0xe00, s50                                   // 000000003B68: 807C32FF 00000E00
	v_mfma_f32_16x16x32_fp8_fp8 v[104:107], a[128:129], a[48:49], v[104:107]// 000000003B70: D3F30068 1DA26180
	v_mfma_f32_16x16x32_fp8_fp8 v[104:107], a[130:131], a[50:51], v[104:107]// 000000003B78: D3F30068 1DA26582
	v_mfma_f32_16x16x32_fp8_fp8 v[104:107], a[132:133], a[52:53], v[104:107]// 000000003B80: D3F30068 1DA26984
	v_mfma_f32_16x16x32_fp8_fp8 v[104:107], a[134:135], a[54:55], v[104:107]// 000000003B88: D3F30068 1DA26D86
	v_mfma_f32_16x16x32_fp8_fp8 v[136:139], a[136:137], a[48:49], v[136:139]// 000000003B90: D3F30088 1E226188
	v_mfma_f32_16x16x32_fp8_fp8 v[136:139], a[138:139], a[50:51], v[136:139]// 000000003B98: D3F30088 1E22658A
	v_mfma_f32_16x16x32_fp8_fp8 v[136:139], a[140:141], a[52:53], v[136:139]// 000000003BA0: D3F30088 1E22698C
	v_mfma_f32_16x16x32_fp8_fp8 v[136:139], a[142:143], a[54:55], v[136:139]// 000000003BA8: D3F30088 1E226D8E
	v_mfma_f32_16x16x32_fp8_fp8 v[108:111], a[128:129], a[56:57], v[108:111]// 000000003BB0: D3F3006C 1DB27180
	v_mfma_f32_16x16x32_fp8_fp8 v[108:111], a[130:131], a[58:59], v[108:111]// 000000003BB8: D3F3006C 1DB27582
	buffer_load_dword v76, s[20:23], 0 offen lds               // 000000003BC0: E0511000 8005004C
	s_add_u32 m0, 0xf00, s50                                   // 000000003BC8: 807C32FF 00000F00
	v_mfma_f32_16x16x32_fp8_fp8 v[108:111], a[132:133], a[60:61], v[108:111]// 000000003BD0: D3F3006C 1DB27984
	v_mfma_f32_16x16x32_fp8_fp8 v[108:111], a[134:135], a[62:63], v[108:111]// 000000003BD8: D3F3006C 1DB27D86
	buffer_load_dword v77, s[20:23], 0 offen lds               // 000000003BE0: E0511000 8005004D
	s_add_u32 m0, 0, s48                                       // 000000003BE8: 807C3080
	v_mfma_f32_16x16x32_fp8_fp8 v[140:143], a[136:137], a[56:57], v[140:143]// 000000003BEC: D3F3008C 1E327188
	v_mfma_f32_16x16x32_fp8_fp8 v[140:143], a[138:139], a[58:59], v[140:143]// 000000003BF4: D3F3008C 1E32758A
	v_mfma_f32_16x16x32_fp8_fp8 v[140:143], a[140:141], a[60:61], v[140:143]// 000000003BFC: D3F3008C 1E32798C
	v_mfma_f32_16x16x32_fp8_fp8 v[140:143], a[142:143], a[62:63], v[140:143]// 000000003C04: D3F3008C 1E327D8E
	s_waitcnt vmcnt(20)                                        // 000000003C0C: BF8C4F74
	s_barrier                                                  // 000000003C10: BF8A0000
	v_mfma_f32_16x16x32_fp8_fp8 v[144:147], a[144:145], a[0:1], v[144:147]// 000000003C14: D3F30090 1E420190
	v_mfma_f32_16x16x32_fp8_fp8 v[144:147], a[146:147], a[2:3], v[144:147]// 000000003C1C: D3F30090 1E420592
	buffer_load_dwordx4 a[128:131], v78, s[84:87], 0 offen     // 000000003C24: E05C1000 8095804E
	v_mfma_f32_16x16x32_fp8_fp8 v[144:147], a[148:149], a[4:5], v[144:147]// 000000003C2C: D3F30090 1E420994
	v_mfma_f32_16x16x32_fp8_fp8 v[144:147], a[150:151], a[6:7], v[144:147]// 000000003C34: D3F30090 1E420D96
	ds_read_b128 a[64:67], v2 offset:16512                     // 000000003C3C: DBFE4080 40000002
	ds_read_b128 a[68:71], v2 offset:16576                     // 000000003C44: DBFE40C0 44000002
	v_mfma_f32_16x16x32_fp8_fp8 v[176:179], a[152:153], a[0:1], v[176:179]// 000000003C4C: D3F300B0 1EC20198
	v_mfma_f32_16x16x32_fp8_fp8 v[176:179], a[154:155], a[2:3], v[176:179]// 000000003C54: D3F300B0 1EC2059A
	buffer_load_dwordx4 a[132:135], v78, s[84:87], 0 offen offset:1024// 000000003C5C: E05C1400 8095844E
	v_mfma_f32_16x16x32_fp8_fp8 v[176:179], a[156:157], a[4:5], v[176:179]// 000000003C64: D3F300B0 1EC2099C
	v_mfma_f32_16x16x32_fp8_fp8 v[176:179], a[158:159], a[6:7], v[176:179]// 000000003C6C: D3F300B0 1EC20D9E
	ds_read_b128 a[72:75], v2 offset:17024                     // 000000003C74: DBFE4280 48000002
	ds_read_b128 a[76:79], v2 offset:17088                     // 000000003C7C: DBFE42C0 4C000002
	v_mfma_f32_16x16x32_fp8_fp8 v[148:151], a[144:145], a[8:9], v[148:151]// 000000003C84: D3F30094 1E521190
	v_mfma_f32_16x16x32_fp8_fp8 v[148:151], a[146:147], a[10:11], v[148:151]// 000000003C8C: D3F30094 1E521592
	buffer_load_dwordx4 a[136:139], v79, s[84:87], 0 offen     // 000000003C94: E05C1000 8095884F
	v_mfma_f32_16x16x32_fp8_fp8 v[148:151], a[148:149], a[12:13], v[148:151]// 000000003C9C: D3F30094 1E521994
	v_mfma_f32_16x16x32_fp8_fp8 v[148:151], a[150:151], a[14:15], v[148:151]// 000000003CA4: D3F30094 1E521D96
	ds_read_b128 a[80:83], v2 offset:17536                     // 000000003CAC: DBFE4480 50000002
	ds_read_b128 a[84:87], v2 offset:17600                     // 000000003CB4: DBFE44C0 54000002
	v_mfma_f32_16x16x32_fp8_fp8 v[180:183], a[152:153], a[8:9], v[180:183]// 000000003CBC: D3F300B4 1ED21198
	v_mfma_f32_16x16x32_fp8_fp8 v[180:183], a[154:155], a[10:11], v[180:183]// 000000003CC4: D3F300B4 1ED2159A
	buffer_load_dwordx4 a[140:143], v79, s[84:87], 0 offen offset:1024// 000000003CCC: E05C1400 80958C4F
	v_mfma_f32_16x16x32_fp8_fp8 v[180:183], a[156:157], a[12:13], v[180:183]// 000000003CD4: D3F300B4 1ED2199C
	v_mfma_f32_16x16x32_fp8_fp8 v[180:183], a[158:159], a[14:15], v[180:183]// 000000003CDC: D3F300B4 1ED21D9E
	ds_read_b128 a[88:91], v2 offset:18048                     // 000000003CE4: DBFE4680 58000002
	ds_read_b128 a[92:95], v2 offset:18112                     // 000000003CEC: DBFE46C0 5C000002
	v_mfma_f32_16x16x32_fp8_fp8 v[152:155], a[144:145], a[16:17], v[152:155]// 000000003CF4: D3F30098 1E622190
	v_mfma_f32_16x16x32_fp8_fp8 v[152:155], a[146:147], a[18:19], v[152:155]// 000000003CFC: D3F30098 1E622592
	v_mfma_f32_16x16x32_fp8_fp8 v[152:155], a[148:149], a[20:21], v[152:155]// 000000003D04: D3F30098 1E622994
	v_mfma_f32_16x16x32_fp8_fp8 v[152:155], a[150:151], a[22:23], v[152:155]// 000000003D0C: D3F30098 1E622D96
	ds_read_b128 a[96:99], v2 offset:18560                     // 000000003D14: DBFE4880 60000002
	ds_read_b128 a[100:103], v2 offset:18624                   // 000000003D1C: DBFE48C0 64000002
	v_mfma_f32_16x16x32_fp8_fp8 v[184:187], a[152:153], a[16:17], v[184:187]// 000000003D24: D3F300B8 1EE22198
	v_mfma_f32_16x16x32_fp8_fp8 v[184:187], a[154:155], a[18:19], v[184:187]// 000000003D2C: D3F300B8 1EE2259A
	v_mfma_f32_16x16x32_fp8_fp8 v[184:187], a[156:157], a[20:21], v[184:187]// 000000003D34: D3F300B8 1EE2299C
	v_mfma_f32_16x16x32_fp8_fp8 v[184:187], a[158:159], a[22:23], v[184:187]// 000000003D3C: D3F300B8 1EE22D9E
	ds_read_b128 a[104:107], v2 offset:19072                   // 000000003D44: DBFE4A80 68000002
	ds_read_b128 a[108:111], v2 offset:19136                   // 000000003D4C: DBFE4AC0 6C000002
	v_mfma_f32_16x16x32_fp8_fp8 v[156:159], a[144:145], a[24:25], v[156:159]// 000000003D54: D3F3009C 1E723190
	v_mfma_f32_16x16x32_fp8_fp8 v[156:159], a[146:147], a[26:27], v[156:159]// 000000003D5C: D3F3009C 1E723592
	v_mfma_f32_16x16x32_fp8_fp8 v[156:159], a[148:149], a[28:29], v[156:159]// 000000003D64: D3F3009C 1E723994
	v_mfma_f32_16x16x32_fp8_fp8 v[156:159], a[150:151], a[30:31], v[156:159]// 000000003D6C: D3F3009C 1E723D96
	ds_read_b128 a[112:115], v2 offset:19584                   // 000000003D74: DBFE4C80 70000002
	ds_read_b128 a[116:119], v2 offset:19648                   // 000000003D7C: DBFE4CC0 74000002
	v_mfma_f32_16x16x32_fp8_fp8 v[188:191], a[152:153], a[24:25], v[188:191]// 000000003D84: D3F300BC 1EF23198
	v_mfma_f32_16x16x32_fp8_fp8 v[188:191], a[154:155], a[26:27], v[188:191]// 000000003D8C: D3F300BC 1EF2359A
	v_mfma_f32_16x16x32_fp8_fp8 v[188:191], a[156:157], a[28:29], v[188:191]// 000000003D94: D3F300BC 1EF2399C
	v_mfma_f32_16x16x32_fp8_fp8 v[188:191], a[158:159], a[30:31], v[188:191]// 000000003D9C: D3F300BC 1EF23D9E
	ds_read_b128 a[120:123], v2 offset:20096                   // 000000003DA4: DBFE4E80 78000002
	ds_read_b128 a[124:127], v2 offset:20160                   // 000000003DAC: DBFE4EC0 7C000002
	v_mfma_f32_16x16x32_fp8_fp8 v[160:163], a[144:145], a[32:33], v[160:163]// 000000003DB4: D3F300A0 1E824190
	v_mfma_f32_16x16x32_fp8_fp8 v[160:163], a[146:147], a[34:35], v[160:163]// 000000003DBC: D3F300A0 1E824592
	v_mfma_f32_16x16x32_fp8_fp8 v[160:163], a[148:149], a[36:37], v[160:163]// 000000003DC4: D3F300A0 1E824994
	v_mfma_f32_16x16x32_fp8_fp8 v[160:163], a[150:151], a[38:39], v[160:163]// 000000003DCC: D3F300A0 1E824D96
	v_mfma_f32_16x16x32_fp8_fp8 v[192:195], a[152:153], a[32:33], v[192:195]// 000000003DD4: D3F300C0 1F024198
	v_mfma_f32_16x16x32_fp8_fp8 v[192:195], a[154:155], a[34:35], v[192:195]// 000000003DDC: D3F300C0 1F02459A
	v_mfma_f32_16x16x32_fp8_fp8 v[192:195], a[156:157], a[36:37], v[192:195]// 000000003DE4: D3F300C0 1F02499C
	v_mfma_f32_16x16x32_fp8_fp8 v[192:195], a[158:159], a[38:39], v[192:195]// 000000003DEC: D3F300C0 1F024D9E
	v_mfma_f32_16x16x32_fp8_fp8 v[164:167], a[144:145], a[40:41], v[164:167]// 000000003DF4: D3F300A4 1E925190
	v_mfma_f32_16x16x32_fp8_fp8 v[164:167], a[146:147], a[42:43], v[164:167]// 000000003DFC: D3F300A4 1E925592
	v_mfma_f32_16x16x32_fp8_fp8 v[164:167], a[148:149], a[44:45], v[164:167]// 000000003E04: D3F300A4 1E925994
	v_mfma_f32_16x16x32_fp8_fp8 v[164:167], a[150:151], a[46:47], v[164:167]// 000000003E0C: D3F300A4 1E925D96
	v_mfma_f32_16x16x32_fp8_fp8 v[196:199], a[152:153], a[40:41], v[196:199]// 000000003E14: D3F300C4 1F125198
	v_mfma_f32_16x16x32_fp8_fp8 v[196:199], a[154:155], a[42:43], v[196:199]// 000000003E1C: D3F300C4 1F12559A
	v_mfma_f32_16x16x32_fp8_fp8 v[196:199], a[156:157], a[44:45], v[196:199]// 000000003E24: D3F300C4 1F12599C
	v_mfma_f32_16x16x32_fp8_fp8 v[196:199], a[158:159], a[46:47], v[196:199]// 000000003E2C: D3F300C4 1F125D9E
	v_mfma_f32_16x16x32_fp8_fp8 v[168:171], a[144:145], a[48:49], v[168:171]// 000000003E34: D3F300A8 1EA26190
	v_mfma_f32_16x16x32_fp8_fp8 v[168:171], a[146:147], a[50:51], v[168:171]// 000000003E3C: D3F300A8 1EA26592
	v_mfma_f32_16x16x32_fp8_fp8 v[168:171], a[148:149], a[52:53], v[168:171]// 000000003E44: D3F300A8 1EA26994
	v_mfma_f32_16x16x32_fp8_fp8 v[168:171], a[150:151], a[54:55], v[168:171]// 000000003E4C: D3F300A8 1EA26D96
	v_mfma_f32_16x16x32_fp8_fp8 v[200:203], a[152:153], a[48:49], v[200:203]// 000000003E54: D3F300C8 1F226198
	v_mfma_f32_16x16x32_fp8_fp8 v[200:203], a[154:155], a[50:51], v[200:203]// 000000003E5C: D3F300C8 1F22659A
	v_mfma_f32_16x16x32_fp8_fp8 v[200:203], a[156:157], a[52:53], v[200:203]// 000000003E64: D3F300C8 1F22699C
	v_mfma_f32_16x16x32_fp8_fp8 v[200:203], a[158:159], a[54:55], v[200:203]// 000000003E6C: D3F300C8 1F226D9E
	v_mfma_f32_16x16x32_fp8_fp8 v[172:175], a[144:145], a[56:57], v[172:175]// 000000003E74: D3F300AC 1EB27190
	s_add_u32 s60, 0x180, s80                                  // 000000003E7C: 803C50FF 00000180
	s_cmp_lt_u32 s60, s81                                      // 000000003E84: BF0A513C
	s_cselect_b32 s57, s57, 0                                  // 000000003E88: 85398039
	v_mfma_f32_16x16x32_fp8_fp8 v[172:175], a[146:147], a[58:59], v[172:175]// 000000003E8C: D3F300AC 1EB27592
	s_add_u32 s60, 0x100, s80                                  // 000000003E94: 803C50FF 00000100
	s_cmp_lt_u32 s60, s81                                      // 000000003E9C: BF0A513C
	s_cselect_b32 s58, s58, 0                                  // 000000003EA0: 853A803A
	v_mfma_f32_16x16x32_fp8_fp8 v[172:175], a[148:149], a[60:61], v[172:175]// 000000003EA4: D3F300AC 1EB27994
	s_add_u32 s60, 0x100, s80                                  // 000000003EAC: 803C50FF 00000100
	s_cmp_lt_u32 s60, s81                                      // 000000003EB4: BF0A513C
	s_cselect_b32 s83, s83, 0                                  // 000000003EB8: 85538053
	v_mfma_f32_16x16x32_fp8_fp8 v[172:175], a[150:151], a[62:63], v[172:175]// 000000003EBC: D3F300AC 1EB27D96
	s_add_u32 s24, s58, s24                                    // 000000003EC4: 8018183A
	s_addc_u32 s25, 0, s25                                     // 000000003EC8: 82191980
	v_mfma_f32_16x16x32_fp8_fp8 v[204:207], a[152:153], a[56:57], v[204:207]// 000000003ECC: D3F300CC 1F327198
	s_add_u32 s20, s57, s20                                    // 000000003ED4: 80141439
	s_addc_u32 s21, 0, s21                                     // 000000003ED8: 82151580
	v_mfma_f32_16x16x32_fp8_fp8 v[204:207], a[154:155], a[58:59], v[204:207]// 000000003EDC: D3F300CC 1F32759A
	s_add_u32 s84, s83, s84                                    // 000000003EE4: 80545453
	s_addc_u32 s85, 0, s85                                     // 000000003EE8: 82555580
	v_mfma_f32_16x16x32_fp8_fp8 v[204:207], a[156:157], a[60:61], v[204:207]// 000000003EEC: D3F300CC 1F32799C
	v_mfma_f32_16x16x32_fp8_fp8 v[204:207], a[158:159], a[62:63], v[204:207]// 000000003EF4: D3F300CC 1F327D9E
	s_addk_i32 s80, 0x80                                       // 000000003EFC: B7500080
	s_cmp_lt_i32 s80, s81                                      // 000000003F00: BF045150
	s_cbranch_scc0 label_0CE6                                  // 000000003F04: BF8407A4
	s_waitcnt vmcnt(20) lgkmcnt(0)                             // 000000003F08: BF8C4074
	v_mfma_f32_16x16x32_fp8_fp8 v[80:83], a[160:161], a[64:65], v[80:83]// 000000003F0C: D3F30050 1D4281A0
	v_mfma_f32_16x16x32_fp8_fp8 v[80:83], a[162:163], a[66:67], v[80:83]// 000000003F14: D3F30050 1D4285A2
	buffer_load_dwordx4 a[144:147], v78, s[24:27], 0 offen     // 000000003F1C: E05C1000 8086904E
	v_mfma_f32_16x16x32_fp8_fp8 v[80:83], a[164:165], a[68:69], v[80:83]// 000000003F24: D3F30050 1D4289A4
	v_mfma_f32_16x16x32_fp8_fp8 v[80:83], a[166:167], a[70:71], v[80:83]// 000000003F2C: D3F30050 1D428DA6
	v_mfma_f32_16x16x32_fp8_fp8 v[112:115], a[168:169], a[64:65], v[112:115]// 000000003F34: D3F30070 1DC281A8
	v_mfma_f32_16x16x32_fp8_fp8 v[112:115], a[170:171], a[66:67], v[112:115]// 000000003F3C: D3F30070 1DC285AA
	buffer_load_dwordx4 a[148:151], v78, s[24:27], 0 offen offset:1024// 000000003F44: E05C1400 8086944E
	v_mfma_f32_16x16x32_fp8_fp8 v[112:115], a[172:173], a[68:69], v[112:115]// 000000003F4C: D3F30070 1DC289AC
	v_mfma_f32_16x16x32_fp8_fp8 v[112:115], a[174:175], a[70:71], v[112:115]// 000000003F54: D3F30070 1DC28DAE
	v_mfma_f32_16x16x32_fp8_fp8 v[84:87], a[160:161], a[72:73], v[84:87]// 000000003F5C: D3F30054 1D5291A0
	v_mfma_f32_16x16x32_fp8_fp8 v[84:87], a[162:163], a[74:75], v[84:87]// 000000003F64: D3F30054 1D5295A2
	buffer_load_dwordx4 a[152:155], v79, s[24:27], 0 offen     // 000000003F6C: E05C1000 8086984F
	v_mfma_f32_16x16x32_fp8_fp8 v[84:87], a[164:165], a[76:77], v[84:87]// 000000003F74: D3F30054 1D5299A4
	v_mfma_f32_16x16x32_fp8_fp8 v[84:87], a[166:167], a[78:79], v[84:87]// 000000003F7C: D3F30054 1D529DA6
	v_mfma_f32_16x16x32_fp8_fp8 v[116:119], a[168:169], a[72:73], v[116:119]// 000000003F84: D3F30074 1DD291A8
	v_mfma_f32_16x16x32_fp8_fp8 v[116:119], a[170:171], a[74:75], v[116:119]// 000000003F8C: D3F30074 1DD295AA
	buffer_load_dwordx4 a[156:159], v79, s[24:27], 0 offen offset:1024// 000000003F94: E05C1400 80869C4F
	buffer_load_dword v62, s[20:23], 0 offen lds               // 000000003F9C: E0511000 8005003E
	s_add_u32 m0, 0x100, s48                                   // 000000003FA4: 807C30FF 00000100
	v_mfma_f32_16x16x32_fp8_fp8 v[116:119], a[172:173], a[76:77], v[116:119]// 000000003FAC: D3F30074 1DD299AC
	v_mfma_f32_16x16x32_fp8_fp8 v[116:119], a[174:175], a[78:79], v[116:119]// 000000003FB4: D3F30074 1DD29DAE
	buffer_load_dword v63, s[20:23], 0 offen lds               // 000000003FBC: E0511000 8005003F
	s_add_u32 m0, 0x200, s48                                   // 000000003FC4: 807C30FF 00000200
	v_mfma_f32_16x16x32_fp8_fp8 v[88:91], a[160:161], a[80:81], v[88:91]// 000000003FCC: D3F30058 1D62A1A0
	v_mfma_f32_16x16x32_fp8_fp8 v[88:91], a[162:163], a[82:83], v[88:91]// 000000003FD4: D3F30058 1D62A5A2
	buffer_load_dword v64, s[20:23], 0 offen lds               // 000000003FDC: E0511000 80050040
	s_add_u32 m0, 0x300, s48                                   // 000000003FE4: 807C30FF 00000300
	v_mfma_f32_16x16x32_fp8_fp8 v[88:91], a[164:165], a[84:85], v[88:91]// 000000003FEC: D3F30058 1D62A9A4
	v_mfma_f32_16x16x32_fp8_fp8 v[88:91], a[166:167], a[86:87], v[88:91]// 000000003FF4: D3F30058 1D62ADA6
	buffer_load_dword v65, s[20:23], 0 offen lds               // 000000003FFC: E0511000 80050041
	s_add_u32 m0, 0x400, s48                                   // 000000004004: 807C30FF 00000400
	v_mfma_f32_16x16x32_fp8_fp8 v[120:123], a[168:169], a[80:81], v[120:123]// 00000000400C: D3F30078 1DE2A1A8
	v_mfma_f32_16x16x32_fp8_fp8 v[120:123], a[170:171], a[82:83], v[120:123]// 000000004014: D3F30078 1DE2A5AA
	buffer_load_dword v66, s[20:23], 0 offen lds               // 00000000401C: E0511000 80050042
	s_add_u32 m0, 0x500, s48                                   // 000000004024: 807C30FF 00000500
	v_mfma_f32_16x16x32_fp8_fp8 v[120:123], a[172:173], a[84:85], v[120:123]// 00000000402C: D3F30078 1DE2A9AC
	v_mfma_f32_16x16x32_fp8_fp8 v[120:123], a[174:175], a[86:87], v[120:123]// 000000004034: D3F30078 1DE2ADAE
	buffer_load_dword v67, s[20:23], 0 offen lds               // 00000000403C: E0511000 80050043
	s_add_u32 m0, 0x600, s48                                   // 000000004044: 807C30FF 00000600
	v_mfma_f32_16x16x32_fp8_fp8 v[92:95], a[160:161], a[88:89], v[92:95]// 00000000404C: D3F3005C 1D72B1A0
	v_mfma_f32_16x16x32_fp8_fp8 v[92:95], a[162:163], a[90:91], v[92:95]// 000000004054: D3F3005C 1D72B5A2
	buffer_load_dword v68, s[20:23], 0 offen lds               // 00000000405C: E0511000 80050044
	s_add_u32 m0, 0x700, s48                                   // 000000004064: 807C30FF 00000700
	v_mfma_f32_16x16x32_fp8_fp8 v[92:95], a[164:165], a[92:93], v[92:95]// 00000000406C: D3F3005C 1D72B9A4
	v_mfma_f32_16x16x32_fp8_fp8 v[92:95], a[166:167], a[94:95], v[92:95]// 000000004074: D3F3005C 1D72BDA6
	buffer_load_dword v69, s[20:23], 0 offen lds               // 00000000407C: E0511000 80050045
	s_add_u32 m0, 0x800, s48                                   // 000000004084: 807C30FF 00000800
	v_mfma_f32_16x16x32_fp8_fp8 v[124:127], a[168:169], a[88:89], v[124:127]// 00000000408C: D3F3007C 1DF2B1A8
	v_mfma_f32_16x16x32_fp8_fp8 v[124:127], a[170:171], a[90:91], v[124:127]// 000000004094: D3F3007C 1DF2B5AA
	buffer_load_dword v70, s[20:23], 0 offen lds               // 00000000409C: E0511000 80050046
	s_add_u32 m0, 0x900, s48                                   // 0000000040A4: 807C30FF 00000900
	v_mfma_f32_16x16x32_fp8_fp8 v[124:127], a[172:173], a[92:93], v[124:127]// 0000000040AC: D3F3007C 1DF2B9AC
	v_mfma_f32_16x16x32_fp8_fp8 v[124:127], a[174:175], a[94:95], v[124:127]// 0000000040B4: D3F3007C 1DF2BDAE
	buffer_load_dword v71, s[20:23], 0 offen lds               // 0000000040BC: E0511000 80050047
	s_add_u32 m0, 0xa00, s48                                   // 0000000040C4: 807C30FF 00000A00
	v_mfma_f32_16x16x32_fp8_fp8 v[96:99], a[160:161], a[96:97], v[96:99]// 0000000040CC: D3F30060 1D82C1A0
	v_mfma_f32_16x16x32_fp8_fp8 v[96:99], a[162:163], a[98:99], v[96:99]// 0000000040D4: D3F30060 1D82C5A2
	v_mfma_f32_16x16x32_fp8_fp8 v[96:99], a[164:165], a[100:101], v[96:99]// 0000000040DC: D3F30060 1D82C9A4
	v_mfma_f32_16x16x32_fp8_fp8 v[96:99], a[166:167], a[102:103], v[96:99]// 0000000040E4: D3F30060 1D82CDA6
	v_mfma_f32_16x16x32_fp8_fp8 v[128:131], a[168:169], a[96:97], v[128:131]// 0000000040EC: D3F30080 1E02C1A8
	v_mfma_f32_16x16x32_fp8_fp8 v[128:131], a[170:171], a[98:99], v[128:131]// 0000000040F4: D3F30080 1E02C5AA
	v_mfma_f32_16x16x32_fp8_fp8 v[128:131], a[172:173], a[100:101], v[128:131]// 0000000040FC: D3F30080 1E02C9AC
	v_mfma_f32_16x16x32_fp8_fp8 v[128:131], a[174:175], a[102:103], v[128:131]// 000000004104: D3F30080 1E02CDAE
	v_mfma_f32_16x16x32_fp8_fp8 v[100:103], a[160:161], a[104:105], v[100:103]// 00000000410C: D3F30064 1D92D1A0
	v_mfma_f32_16x16x32_fp8_fp8 v[100:103], a[162:163], a[106:107], v[100:103]// 000000004114: D3F30064 1D92D5A2
	buffer_load_dword v72, s[20:23], 0 offen lds               // 00000000411C: E0511000 80050048
	s_add_u32 m0, 0xb00, s48                                   // 000000004124: 807C30FF 00000B00
	v_mfma_f32_16x16x32_fp8_fp8 v[100:103], a[164:165], a[108:109], v[100:103]// 00000000412C: D3F30064 1D92D9A4
	v_mfma_f32_16x16x32_fp8_fp8 v[100:103], a[166:167], a[110:111], v[100:103]// 000000004134: D3F30064 1D92DDA6
	buffer_load_dword v73, s[20:23], 0 offen lds               // 00000000413C: E0511000 80050049
	s_add_u32 m0, 0xc00, s48                                   // 000000004144: 807C30FF 00000C00
	v_mfma_f32_16x16x32_fp8_fp8 v[132:135], a[168:169], a[104:105], v[132:135]// 00000000414C: D3F30084 1E12D1A8
	v_mfma_f32_16x16x32_fp8_fp8 v[132:135], a[170:171], a[106:107], v[132:135]// 000000004154: D3F30084 1E12D5AA
	buffer_load_dword v74, s[20:23], 0 offen lds               // 00000000415C: E0511000 8005004A
	s_add_u32 m0, 0xd00, s48                                   // 000000004164: 807C30FF 00000D00
	v_mfma_f32_16x16x32_fp8_fp8 v[132:135], a[172:173], a[108:109], v[132:135]// 00000000416C: D3F30084 1E12D9AC
	v_mfma_f32_16x16x32_fp8_fp8 v[132:135], a[174:175], a[110:111], v[132:135]// 000000004174: D3F30084 1E12DDAE
	buffer_load_dword v75, s[20:23], 0 offen lds               // 00000000417C: E0511000 8005004B
	s_add_u32 m0, 0xe00, s48                                   // 000000004184: 807C30FF 00000E00
	v_mfma_f32_16x16x32_fp8_fp8 v[104:107], a[160:161], a[112:113], v[104:107]// 00000000418C: D3F30068 1DA2E1A0
	v_mfma_f32_16x16x32_fp8_fp8 v[104:107], a[162:163], a[114:115], v[104:107]// 000000004194: D3F30068 1DA2E5A2
	v_mfma_f32_16x16x32_fp8_fp8 v[104:107], a[164:165], a[116:117], v[104:107]// 00000000419C: D3F30068 1DA2E9A4
	v_mfma_f32_16x16x32_fp8_fp8 v[104:107], a[166:167], a[118:119], v[104:107]// 0000000041A4: D3F30068 1DA2EDA6
	v_mfma_f32_16x16x32_fp8_fp8 v[136:139], a[168:169], a[112:113], v[136:139]// 0000000041AC: D3F30088 1E22E1A8
	v_mfma_f32_16x16x32_fp8_fp8 v[136:139], a[170:171], a[114:115], v[136:139]// 0000000041B4: D3F30088 1E22E5AA
	v_mfma_f32_16x16x32_fp8_fp8 v[136:139], a[172:173], a[116:117], v[136:139]// 0000000041BC: D3F30088 1E22E9AC
	v_mfma_f32_16x16x32_fp8_fp8 v[136:139], a[174:175], a[118:119], v[136:139]// 0000000041C4: D3F30088 1E22EDAE
	v_mfma_f32_16x16x32_fp8_fp8 v[108:111], a[160:161], a[120:121], v[108:111]// 0000000041CC: D3F3006C 1DB2F1A0
	v_mfma_f32_16x16x32_fp8_fp8 v[108:111], a[162:163], a[122:123], v[108:111]// 0000000041D4: D3F3006C 1DB2F5A2
	buffer_load_dword v76, s[20:23], 0 offen lds               // 0000000041DC: E0511000 8005004C
	s_add_u32 m0, 0xf00, s48                                   // 0000000041E4: 807C30FF 00000F00
	v_mfma_f32_16x16x32_fp8_fp8 v[108:111], a[164:165], a[124:125], v[108:111]// 0000000041EC: D3F3006C 1DB2F9A4
	v_mfma_f32_16x16x32_fp8_fp8 v[108:111], a[166:167], a[126:127], v[108:111]// 0000000041F4: D3F3006C 1DB2FDA6
	buffer_load_dword v77, s[20:23], 0 offen lds               // 0000000041FC: E0511000 8005004D
	s_add_u32 m0, 0, s49                                       // 000000004204: 807C3180
	v_mfma_f32_16x16x32_fp8_fp8 v[140:143], a[168:169], a[120:121], v[140:143]// 000000004208: D3F3008C 1E32F1A8
	v_mfma_f32_16x16x32_fp8_fp8 v[140:143], a[170:171], a[122:123], v[140:143]// 000000004210: D3F3008C 1E32F5AA
	v_mfma_f32_16x16x32_fp8_fp8 v[140:143], a[172:173], a[124:125], v[140:143]// 000000004218: D3F3008C 1E32F9AC
	v_mfma_f32_16x16x32_fp8_fp8 v[140:143], a[174:175], a[126:127], v[140:143]// 000000004220: D3F3008C 1E32FDAE
	s_waitcnt vmcnt(20)                                        // 000000004228: BF8C4F74
	s_barrier                                                  // 00000000422C: BF8A0000
	v_mfma_f32_16x16x32_fp8_fp8 v[144:147], a[128:129], a[64:65], v[144:147]// 000000004230: D3F30090 1E428180
	v_mfma_f32_16x16x32_fp8_fp8 v[144:147], a[130:131], a[66:67], v[144:147]// 000000004238: D3F30090 1E428582
	buffer_load_dwordx4 a[160:163], v78, s[84:87], 0 offen     // 000000004240: E05C1000 8095A04E
	v_mfma_f32_16x16x32_fp8_fp8 v[144:147], a[132:133], a[68:69], v[144:147]// 000000004248: D3F30090 1E428984
	v_mfma_f32_16x16x32_fp8_fp8 v[144:147], a[134:135], a[70:71], v[144:147]// 000000004250: D3F30090 1E428D86
	ds_read_b128 a[0:3], v2 offset:33024                       // 000000004258: DBFE8100 00000002
	ds_read_b128 a[4:7], v2 offset:33088                       // 000000004260: DBFE8140 04000002
	v_mfma_f32_16x16x32_fp8_fp8 v[176:179], a[136:137], a[64:65], v[176:179]// 000000004268: D3F300B0 1EC28188
	v_mfma_f32_16x16x32_fp8_fp8 v[176:179], a[138:139], a[66:67], v[176:179]// 000000004270: D3F300B0 1EC2858A
	buffer_load_dwordx4 a[164:167], v78, s[84:87], 0 offen offset:1024// 000000004278: E05C1400 8095A44E
	v_mfma_f32_16x16x32_fp8_fp8 v[176:179], a[140:141], a[68:69], v[176:179]// 000000004280: D3F300B0 1EC2898C
	v_mfma_f32_16x16x32_fp8_fp8 v[176:179], a[142:143], a[70:71], v[176:179]// 000000004288: D3F300B0 1EC28D8E
	ds_read_b128 a[8:11], v2 offset:33536                      // 000000004290: DBFE8300 08000002
	ds_read_b128 a[12:15], v2 offset:33600                     // 000000004298: DBFE8340 0C000002
	v_mfma_f32_16x16x32_fp8_fp8 v[148:151], a[128:129], a[72:73], v[148:151]// 0000000042A0: D3F30094 1E529180
	v_mfma_f32_16x16x32_fp8_fp8 v[148:151], a[130:131], a[74:75], v[148:151]// 0000000042A8: D3F30094 1E529582
	buffer_load_dwordx4 a[168:171], v79, s[84:87], 0 offen     // 0000000042B0: E05C1000 8095A84F
	v_mfma_f32_16x16x32_fp8_fp8 v[148:151], a[132:133], a[76:77], v[148:151]// 0000000042B8: D3F30094 1E529984
	v_mfma_f32_16x16x32_fp8_fp8 v[148:151], a[134:135], a[78:79], v[148:151]// 0000000042C0: D3F30094 1E529D86
	ds_read_b128 a[16:19], v2 offset:34048                     // 0000000042C8: DBFE8500 10000002
	ds_read_b128 a[20:23], v2 offset:34112                     // 0000000042D0: DBFE8540 14000002
	v_mfma_f32_16x16x32_fp8_fp8 v[180:183], a[136:137], a[72:73], v[180:183]// 0000000042D8: D3F300B4 1ED29188
	v_mfma_f32_16x16x32_fp8_fp8 v[180:183], a[138:139], a[74:75], v[180:183]// 0000000042E0: D3F300B4 1ED2958A
	buffer_load_dwordx4 a[172:175], v79, s[84:87], 0 offen offset:1024// 0000000042E8: E05C1400 8095AC4F
	v_mfma_f32_16x16x32_fp8_fp8 v[180:183], a[140:141], a[76:77], v[180:183]// 0000000042F0: D3F300B4 1ED2998C
	v_mfma_f32_16x16x32_fp8_fp8 v[180:183], a[142:143], a[78:79], v[180:183]// 0000000042F8: D3F300B4 1ED29D8E
	ds_read_b128 a[24:27], v2 offset:34560                     // 000000004300: DBFE8700 18000002
	ds_read_b128 a[28:31], v2 offset:34624                     // 000000004308: DBFE8740 1C000002
	v_mfma_f32_16x16x32_fp8_fp8 v[152:155], a[128:129], a[80:81], v[152:155]// 000000004310: D3F30098 1E62A180
	v_mfma_f32_16x16x32_fp8_fp8 v[152:155], a[130:131], a[82:83], v[152:155]// 000000004318: D3F30098 1E62A582
	v_mfma_f32_16x16x32_fp8_fp8 v[152:155], a[132:133], a[84:85], v[152:155]// 000000004320: D3F30098 1E62A984
	v_mfma_f32_16x16x32_fp8_fp8 v[152:155], a[134:135], a[86:87], v[152:155]// 000000004328: D3F30098 1E62AD86
	ds_read_b128 a[32:35], v2 offset:35072                     // 000000004330: DBFE8900 20000002
	ds_read_b128 a[36:39], v2 offset:35136                     // 000000004338: DBFE8940 24000002
	v_mfma_f32_16x16x32_fp8_fp8 v[184:187], a[136:137], a[80:81], v[184:187]// 000000004340: D3F300B8 1EE2A188
	v_mfma_f32_16x16x32_fp8_fp8 v[184:187], a[138:139], a[82:83], v[184:187]// 000000004348: D3F300B8 1EE2A58A
	v_mfma_f32_16x16x32_fp8_fp8 v[184:187], a[140:141], a[84:85], v[184:187]// 000000004350: D3F300B8 1EE2A98C
	v_mfma_f32_16x16x32_fp8_fp8 v[184:187], a[142:143], a[86:87], v[184:187]// 000000004358: D3F300B8 1EE2AD8E
	ds_read_b128 a[40:43], v2 offset:35584                     // 000000004360: DBFE8B00 28000002
	ds_read_b128 a[44:47], v2 offset:35648                     // 000000004368: DBFE8B40 2C000002
	v_mfma_f32_16x16x32_fp8_fp8 v[156:159], a[128:129], a[88:89], v[156:159]// 000000004370: D3F3009C 1E72B180
	v_mfma_f32_16x16x32_fp8_fp8 v[156:159], a[130:131], a[90:91], v[156:159]// 000000004378: D3F3009C 1E72B582
	v_mfma_f32_16x16x32_fp8_fp8 v[156:159], a[132:133], a[92:93], v[156:159]// 000000004380: D3F3009C 1E72B984
	v_mfma_f32_16x16x32_fp8_fp8 v[156:159], a[134:135], a[94:95], v[156:159]// 000000004388: D3F3009C 1E72BD86
	ds_read_b128 a[48:51], v2 offset:36096                     // 000000004390: DBFE8D00 30000002
	ds_read_b128 a[52:55], v2 offset:36160                     // 000000004398: DBFE8D40 34000002
	v_mfma_f32_16x16x32_fp8_fp8 v[188:191], a[136:137], a[88:89], v[188:191]// 0000000043A0: D3F300BC 1EF2B188
	v_mfma_f32_16x16x32_fp8_fp8 v[188:191], a[138:139], a[90:91], v[188:191]// 0000000043A8: D3F300BC 1EF2B58A
	v_mfma_f32_16x16x32_fp8_fp8 v[188:191], a[140:141], a[92:93], v[188:191]// 0000000043B0: D3F300BC 1EF2B98C
	v_mfma_f32_16x16x32_fp8_fp8 v[188:191], a[142:143], a[94:95], v[188:191]// 0000000043B8: D3F300BC 1EF2BD8E
	ds_read_b128 a[56:59], v2 offset:36608                     // 0000000043C0: DBFE8F00 38000002
	ds_read_b128 a[60:63], v2 offset:36672                     // 0000000043C8: DBFE8F40 3C000002
	v_mfma_f32_16x16x32_fp8_fp8 v[160:163], a[128:129], a[96:97], v[160:163]// 0000000043D0: D3F300A0 1E82C180
	v_mfma_f32_16x16x32_fp8_fp8 v[160:163], a[130:131], a[98:99], v[160:163]// 0000000043D8: D3F300A0 1E82C582
	v_mfma_f32_16x16x32_fp8_fp8 v[160:163], a[132:133], a[100:101], v[160:163]// 0000000043E0: D3F300A0 1E82C984
	v_mfma_f32_16x16x32_fp8_fp8 v[160:163], a[134:135], a[102:103], v[160:163]// 0000000043E8: D3F300A0 1E82CD86
	v_mfma_f32_16x16x32_fp8_fp8 v[192:195], a[136:137], a[96:97], v[192:195]// 0000000043F0: D3F300C0 1F02C188
	v_mfma_f32_16x16x32_fp8_fp8 v[192:195], a[138:139], a[98:99], v[192:195]// 0000000043F8: D3F300C0 1F02C58A
	v_mfma_f32_16x16x32_fp8_fp8 v[192:195], a[140:141], a[100:101], v[192:195]// 000000004400: D3F300C0 1F02C98C
	v_mfma_f32_16x16x32_fp8_fp8 v[192:195], a[142:143], a[102:103], v[192:195]// 000000004408: D3F300C0 1F02CD8E
	v_mfma_f32_16x16x32_fp8_fp8 v[164:167], a[128:129], a[104:105], v[164:167]// 000000004410: D3F300A4 1E92D180
	v_mfma_f32_16x16x32_fp8_fp8 v[164:167], a[130:131], a[106:107], v[164:167]// 000000004418: D3F300A4 1E92D582
	v_mfma_f32_16x16x32_fp8_fp8 v[164:167], a[132:133], a[108:109], v[164:167]// 000000004420: D3F300A4 1E92D984
	v_mfma_f32_16x16x32_fp8_fp8 v[164:167], a[134:135], a[110:111], v[164:167]// 000000004428: D3F300A4 1E92DD86
	v_mfma_f32_16x16x32_fp8_fp8 v[196:199], a[136:137], a[104:105], v[196:199]// 000000004430: D3F300C4 1F12D188
	v_mfma_f32_16x16x32_fp8_fp8 v[196:199], a[138:139], a[106:107], v[196:199]// 000000004438: D3F300C4 1F12D58A
	v_mfma_f32_16x16x32_fp8_fp8 v[196:199], a[140:141], a[108:109], v[196:199]// 000000004440: D3F300C4 1F12D98C
	v_mfma_f32_16x16x32_fp8_fp8 v[196:199], a[142:143], a[110:111], v[196:199]// 000000004448: D3F300C4 1F12DD8E
	v_mfma_f32_16x16x32_fp8_fp8 v[168:171], a[128:129], a[112:113], v[168:171]// 000000004450: D3F300A8 1EA2E180
	v_mfma_f32_16x16x32_fp8_fp8 v[168:171], a[130:131], a[114:115], v[168:171]// 000000004458: D3F300A8 1EA2E582
	v_mfma_f32_16x16x32_fp8_fp8 v[168:171], a[132:133], a[116:117], v[168:171]// 000000004460: D3F300A8 1EA2E984
	v_mfma_f32_16x16x32_fp8_fp8 v[168:171], a[134:135], a[118:119], v[168:171]// 000000004468: D3F300A8 1EA2ED86
	v_mfma_f32_16x16x32_fp8_fp8 v[200:203], a[136:137], a[112:113], v[200:203]// 000000004470: D3F300C8 1F22E188
	v_mfma_f32_16x16x32_fp8_fp8 v[200:203], a[138:139], a[114:115], v[200:203]// 000000004478: D3F300C8 1F22E58A
	v_mfma_f32_16x16x32_fp8_fp8 v[200:203], a[140:141], a[116:117], v[200:203]// 000000004480: D3F300C8 1F22E98C
	v_mfma_f32_16x16x32_fp8_fp8 v[200:203], a[142:143], a[118:119], v[200:203]// 000000004488: D3F300C8 1F22ED8E
	v_mfma_f32_16x16x32_fp8_fp8 v[172:175], a[128:129], a[120:121], v[172:175]// 000000004490: D3F300AC 1EB2F180
	s_add_u32 s60, 0x180, s80                                  // 000000004498: 803C50FF 00000180
	s_cmp_lt_u32 s60, s81                                      // 0000000044A0: BF0A513C
	s_cselect_b32 s57, s57, 0                                  // 0000000044A4: 85398039
	v_mfma_f32_16x16x32_fp8_fp8 v[172:175], a[130:131], a[122:123], v[172:175]// 0000000044A8: D3F300AC 1EB2F582
	s_add_u32 s60, 0x100, s80                                  // 0000000044B0: 803C50FF 00000100
	s_cmp_lt_u32 s60, s81                                      // 0000000044B8: BF0A513C
	s_cselect_b32 s58, s58, 0                                  // 0000000044BC: 853A803A
	v_mfma_f32_16x16x32_fp8_fp8 v[172:175], a[132:133], a[124:125], v[172:175]// 0000000044C0: D3F300AC 1EB2F984
	s_add_u32 s60, 0x100, s80                                  // 0000000044C8: 803C50FF 00000100
	s_cmp_lt_u32 s60, s81                                      // 0000000044D0: BF0A513C
	s_cselect_b32 s83, s83, 0                                  // 0000000044D4: 85538053
	v_mfma_f32_16x16x32_fp8_fp8 v[172:175], a[134:135], a[126:127], v[172:175]// 0000000044D8: D3F300AC 1EB2FD86
	s_add_u32 s24, s58, s24                                    // 0000000044E0: 8018183A
	s_addc_u32 s25, 0, s25                                     // 0000000044E4: 82191980
	v_mfma_f32_16x16x32_fp8_fp8 v[204:207], a[136:137], a[120:121], v[204:207]// 0000000044E8: D3F300CC 1F32F188
	s_add_u32 s20, s57, s20                                    // 0000000044F0: 80141439
	s_addc_u32 s21, 0, s21                                     // 0000000044F4: 82151580
	v_mfma_f32_16x16x32_fp8_fp8 v[204:207], a[138:139], a[122:123], v[204:207]// 0000000044F8: D3F300CC 1F32F58A
	s_add_u32 s84, s83, s84                                    // 000000004500: 80545453
	s_addc_u32 s85, 0, s85                                     // 000000004504: 82555580
	v_mfma_f32_16x16x32_fp8_fp8 v[204:207], a[140:141], a[124:125], v[204:207]// 000000004508: D3F300CC 1F32F98C
	v_mfma_f32_16x16x32_fp8_fp8 v[204:207], a[142:143], a[126:127], v[204:207]// 000000004510: D3F300CC 1F32FD8E
	s_addk_i32 s80, 0x80                                       // 000000004518: B7500080
	s_cmp_lt_i32 s80, s81                                      // 00000000451C: BF045150
	s_cbranch_scc0 label_0CE6                                  // 000000004520: BF84061D
	s_waitcnt vmcnt(20) lgkmcnt(0)                             // 000000004524: BF8C4074
	v_mfma_f32_16x16x32_fp8_fp8 v[80:83], a[144:145], a[0:1], v[80:83]// 000000004528: D3F30050 1D420190
	v_mfma_f32_16x16x32_fp8_fp8 v[80:83], a[146:147], a[2:3], v[80:83]// 000000004530: D3F30050 1D420592
	buffer_load_dwordx4 a[128:131], v78, s[24:27], 0 offen     // 000000004538: E05C1000 8086804E
	v_mfma_f32_16x16x32_fp8_fp8 v[80:83], a[148:149], a[4:5], v[80:83]// 000000004540: D3F30050 1D420994
	v_mfma_f32_16x16x32_fp8_fp8 v[80:83], a[150:151], a[6:7], v[80:83]// 000000004548: D3F30050 1D420D96
	v_mfma_f32_16x16x32_fp8_fp8 v[112:115], a[152:153], a[0:1], v[112:115]// 000000004550: D3F30070 1DC20198
	v_mfma_f32_16x16x32_fp8_fp8 v[112:115], a[154:155], a[2:3], v[112:115]// 000000004558: D3F30070 1DC2059A
	buffer_load_dwordx4 a[132:135], v78, s[24:27], 0 offen offset:1024// 000000004560: E05C1400 8086844E
	v_mfma_f32_16x16x32_fp8_fp8 v[112:115], a[156:157], a[4:5], v[112:115]// 000000004568: D3F30070 1DC2099C
	v_mfma_f32_16x16x32_fp8_fp8 v[112:115], a[158:159], a[6:7], v[112:115]// 000000004570: D3F30070 1DC20D9E
	v_mfma_f32_16x16x32_fp8_fp8 v[84:87], a[144:145], a[8:9], v[84:87]// 000000004578: D3F30054 1D521190
	v_mfma_f32_16x16x32_fp8_fp8 v[84:87], a[146:147], a[10:11], v[84:87]// 000000004580: D3F30054 1D521592
	buffer_load_dwordx4 a[136:139], v79, s[24:27], 0 offen     // 000000004588: E05C1000 8086884F
	v_mfma_f32_16x16x32_fp8_fp8 v[84:87], a[148:149], a[12:13], v[84:87]// 000000004590: D3F30054 1D521994
	v_mfma_f32_16x16x32_fp8_fp8 v[84:87], a[150:151], a[14:15], v[84:87]// 000000004598: D3F30054 1D521D96
	v_mfma_f32_16x16x32_fp8_fp8 v[116:119], a[152:153], a[8:9], v[116:119]// 0000000045A0: D3F30074 1DD21198
	v_mfma_f32_16x16x32_fp8_fp8 v[116:119], a[154:155], a[10:11], v[116:119]// 0000000045A8: D3F30074 1DD2159A
	buffer_load_dwordx4 a[140:143], v79, s[24:27], 0 offen offset:1024// 0000000045B0: E05C1400 80868C4F
	buffer_load_dword v62, s[20:23], 0 offen lds               // 0000000045B8: E0511000 8005003E
	s_add_u32 m0, 0x100, s49                                   // 0000000045C0: 807C31FF 00000100
	v_mfma_f32_16x16x32_fp8_fp8 v[116:119], a[156:157], a[12:13], v[116:119]// 0000000045C8: D3F30074 1DD2199C
	v_mfma_f32_16x16x32_fp8_fp8 v[116:119], a[158:159], a[14:15], v[116:119]// 0000000045D0: D3F30074 1DD21D9E
	buffer_load_dword v63, s[20:23], 0 offen lds               // 0000000045D8: E0511000 8005003F
	s_add_u32 m0, 0x200, s49                                   // 0000000045E0: 807C31FF 00000200
	v_mfma_f32_16x16x32_fp8_fp8 v[88:91], a[144:145], a[16:17], v[88:91]// 0000000045E8: D3F30058 1D622190
	v_mfma_f32_16x16x32_fp8_fp8 v[88:91], a[146:147], a[18:19], v[88:91]// 0000000045F0: D3F30058 1D622592
	buffer_load_dword v64, s[20:23], 0 offen lds               // 0000000045F8: E0511000 80050040
	s_add_u32 m0, 0x300, s49                                   // 000000004600: 807C31FF 00000300
	v_mfma_f32_16x16x32_fp8_fp8 v[88:91], a[148:149], a[20:21], v[88:91]// 000000004608: D3F30058 1D622994
	v_mfma_f32_16x16x32_fp8_fp8 v[88:91], a[150:151], a[22:23], v[88:91]// 000000004610: D3F30058 1D622D96
	buffer_load_dword v65, s[20:23], 0 offen lds               // 000000004618: E0511000 80050041
	s_add_u32 m0, 0x400, s49                                   // 000000004620: 807C31FF 00000400
	v_mfma_f32_16x16x32_fp8_fp8 v[120:123], a[152:153], a[16:17], v[120:123]// 000000004628: D3F30078 1DE22198
	v_mfma_f32_16x16x32_fp8_fp8 v[120:123], a[154:155], a[18:19], v[120:123]// 000000004630: D3F30078 1DE2259A
	buffer_load_dword v66, s[20:23], 0 offen lds               // 000000004638: E0511000 80050042
	s_add_u32 m0, 0x500, s49                                   // 000000004640: 807C31FF 00000500
	v_mfma_f32_16x16x32_fp8_fp8 v[120:123], a[156:157], a[20:21], v[120:123]// 000000004648: D3F30078 1DE2299C
	v_mfma_f32_16x16x32_fp8_fp8 v[120:123], a[158:159], a[22:23], v[120:123]// 000000004650: D3F30078 1DE22D9E
	buffer_load_dword v67, s[20:23], 0 offen lds               // 000000004658: E0511000 80050043
	s_add_u32 m0, 0x600, s49                                   // 000000004660: 807C31FF 00000600
	v_mfma_f32_16x16x32_fp8_fp8 v[92:95], a[144:145], a[24:25], v[92:95]// 000000004668: D3F3005C 1D723190
	v_mfma_f32_16x16x32_fp8_fp8 v[92:95], a[146:147], a[26:27], v[92:95]// 000000004670: D3F3005C 1D723592
	buffer_load_dword v68, s[20:23], 0 offen lds               // 000000004678: E0511000 80050044
	s_add_u32 m0, 0x700, s49                                   // 000000004680: 807C31FF 00000700
	v_mfma_f32_16x16x32_fp8_fp8 v[92:95], a[148:149], a[28:29], v[92:95]// 000000004688: D3F3005C 1D723994
	v_mfma_f32_16x16x32_fp8_fp8 v[92:95], a[150:151], a[30:31], v[92:95]// 000000004690: D3F3005C 1D723D96
	buffer_load_dword v69, s[20:23], 0 offen lds               // 000000004698: E0511000 80050045
	s_add_u32 m0, 0x800, s49                                   // 0000000046A0: 807C31FF 00000800
	v_mfma_f32_16x16x32_fp8_fp8 v[124:127], a[152:153], a[24:25], v[124:127]// 0000000046A8: D3F3007C 1DF23198
	v_mfma_f32_16x16x32_fp8_fp8 v[124:127], a[154:155], a[26:27], v[124:127]// 0000000046B0: D3F3007C 1DF2359A
	buffer_load_dword v70, s[20:23], 0 offen lds               // 0000000046B8: E0511000 80050046
	s_add_u32 m0, 0x900, s49                                   // 0000000046C0: 807C31FF 00000900
	v_mfma_f32_16x16x32_fp8_fp8 v[124:127], a[156:157], a[28:29], v[124:127]// 0000000046C8: D3F3007C 1DF2399C
	v_mfma_f32_16x16x32_fp8_fp8 v[124:127], a[158:159], a[30:31], v[124:127]// 0000000046D0: D3F3007C 1DF23D9E
	buffer_load_dword v71, s[20:23], 0 offen lds               // 0000000046D8: E0511000 80050047
	s_add_u32 m0, 0xa00, s49                                   // 0000000046E0: 807C31FF 00000A00
	v_mfma_f32_16x16x32_fp8_fp8 v[96:99], a[144:145], a[32:33], v[96:99]// 0000000046E8: D3F30060 1D824190
	v_mfma_f32_16x16x32_fp8_fp8 v[96:99], a[146:147], a[34:35], v[96:99]// 0000000046F0: D3F30060 1D824592
	v_mfma_f32_16x16x32_fp8_fp8 v[96:99], a[148:149], a[36:37], v[96:99]// 0000000046F8: D3F30060 1D824994
	v_mfma_f32_16x16x32_fp8_fp8 v[96:99], a[150:151], a[38:39], v[96:99]// 000000004700: D3F30060 1D824D96
	v_mfma_f32_16x16x32_fp8_fp8 v[128:131], a[152:153], a[32:33], v[128:131]// 000000004708: D3F30080 1E024198
	v_mfma_f32_16x16x32_fp8_fp8 v[128:131], a[154:155], a[34:35], v[128:131]// 000000004710: D3F30080 1E02459A
	v_mfma_f32_16x16x32_fp8_fp8 v[128:131], a[156:157], a[36:37], v[128:131]// 000000004718: D3F30080 1E02499C
	v_mfma_f32_16x16x32_fp8_fp8 v[128:131], a[158:159], a[38:39], v[128:131]// 000000004720: D3F30080 1E024D9E
	v_mfma_f32_16x16x32_fp8_fp8 v[100:103], a[144:145], a[40:41], v[100:103]// 000000004728: D3F30064 1D925190
	v_mfma_f32_16x16x32_fp8_fp8 v[100:103], a[146:147], a[42:43], v[100:103]// 000000004730: D3F30064 1D925592
	buffer_load_dword v72, s[20:23], 0 offen lds               // 000000004738: E0511000 80050048
	s_add_u32 m0, 0xb00, s49                                   // 000000004740: 807C31FF 00000B00
	v_mfma_f32_16x16x32_fp8_fp8 v[100:103], a[148:149], a[44:45], v[100:103]// 000000004748: D3F30064 1D925994
	v_mfma_f32_16x16x32_fp8_fp8 v[100:103], a[150:151], a[46:47], v[100:103]// 000000004750: D3F30064 1D925D96
	buffer_load_dword v73, s[20:23], 0 offen lds               // 000000004758: E0511000 80050049
	s_add_u32 m0, 0xc00, s49                                   // 000000004760: 807C31FF 00000C00
	v_mfma_f32_16x16x32_fp8_fp8 v[132:135], a[152:153], a[40:41], v[132:135]// 000000004768: D3F30084 1E125198
	v_mfma_f32_16x16x32_fp8_fp8 v[132:135], a[154:155], a[42:43], v[132:135]// 000000004770: D3F30084 1E12559A
	buffer_load_dword v74, s[20:23], 0 offen lds               // 000000004778: E0511000 8005004A
	s_add_u32 m0, 0xd00, s49                                   // 000000004780: 807C31FF 00000D00
	v_mfma_f32_16x16x32_fp8_fp8 v[132:135], a[156:157], a[44:45], v[132:135]// 000000004788: D3F30084 1E12599C
	v_mfma_f32_16x16x32_fp8_fp8 v[132:135], a[158:159], a[46:47], v[132:135]// 000000004790: D3F30084 1E125D9E
	buffer_load_dword v75, s[20:23], 0 offen lds               // 000000004798: E0511000 8005004B
	s_add_u32 m0, 0xe00, s49                                   // 0000000047A0: 807C31FF 00000E00
	v_mfma_f32_16x16x32_fp8_fp8 v[104:107], a[144:145], a[48:49], v[104:107]// 0000000047A8: D3F30068 1DA26190
	v_mfma_f32_16x16x32_fp8_fp8 v[104:107], a[146:147], a[50:51], v[104:107]// 0000000047B0: D3F30068 1DA26592
	v_mfma_f32_16x16x32_fp8_fp8 v[104:107], a[148:149], a[52:53], v[104:107]// 0000000047B8: D3F30068 1DA26994
	v_mfma_f32_16x16x32_fp8_fp8 v[104:107], a[150:151], a[54:55], v[104:107]// 0000000047C0: D3F30068 1DA26D96
	v_mfma_f32_16x16x32_fp8_fp8 v[136:139], a[152:153], a[48:49], v[136:139]// 0000000047C8: D3F30088 1E226198
	v_mfma_f32_16x16x32_fp8_fp8 v[136:139], a[154:155], a[50:51], v[136:139]// 0000000047D0: D3F30088 1E22659A
	v_mfma_f32_16x16x32_fp8_fp8 v[136:139], a[156:157], a[52:53], v[136:139]// 0000000047D8: D3F30088 1E22699C
	v_mfma_f32_16x16x32_fp8_fp8 v[136:139], a[158:159], a[54:55], v[136:139]// 0000000047E0: D3F30088 1E226D9E
	v_mfma_f32_16x16x32_fp8_fp8 v[108:111], a[144:145], a[56:57], v[108:111]// 0000000047E8: D3F3006C 1DB27190
	v_mfma_f32_16x16x32_fp8_fp8 v[108:111], a[146:147], a[58:59], v[108:111]// 0000000047F0: D3F3006C 1DB27592
	buffer_load_dword v76, s[20:23], 0 offen lds               // 0000000047F8: E0511000 8005004C
	s_add_u32 m0, 0xf00, s49                                   // 000000004800: 807C31FF 00000F00
	v_mfma_f32_16x16x32_fp8_fp8 v[108:111], a[148:149], a[60:61], v[108:111]// 000000004808: D3F3006C 1DB27994
	v_mfma_f32_16x16x32_fp8_fp8 v[108:111], a[150:151], a[62:63], v[108:111]// 000000004810: D3F3006C 1DB27D96
	buffer_load_dword v77, s[20:23], 0 offen lds               // 000000004818: E0511000 8005004D
	s_add_u32 m0, 0, s50                                       // 000000004820: 807C3280
	v_mfma_f32_16x16x32_fp8_fp8 v[140:143], a[152:153], a[56:57], v[140:143]// 000000004824: D3F3008C 1E327198
	v_mfma_f32_16x16x32_fp8_fp8 v[140:143], a[154:155], a[58:59], v[140:143]// 00000000482C: D3F3008C 1E32759A
	v_mfma_f32_16x16x32_fp8_fp8 v[140:143], a[156:157], a[60:61], v[140:143]// 000000004834: D3F3008C 1E32799C
	v_mfma_f32_16x16x32_fp8_fp8 v[140:143], a[158:159], a[62:63], v[140:143]// 00000000483C: D3F3008C 1E327D9E
	s_waitcnt vmcnt(20)                                        // 000000004844: BF8C4F74
	s_barrier                                                  // 000000004848: BF8A0000
	v_mfma_f32_16x16x32_fp8_fp8 v[144:147], a[160:161], a[0:1], v[144:147]// 00000000484C: D3F30090 1E4201A0
	v_mfma_f32_16x16x32_fp8_fp8 v[144:147], a[162:163], a[2:3], v[144:147]// 000000004854: D3F30090 1E4205A2
	buffer_load_dwordx4 a[144:147], v78, s[84:87], 0 offen     // 00000000485C: E05C1000 8095904E
	v_mfma_f32_16x16x32_fp8_fp8 v[144:147], a[164:165], a[4:5], v[144:147]// 000000004864: D3F30090 1E4209A4
	v_mfma_f32_16x16x32_fp8_fp8 v[144:147], a[166:167], a[6:7], v[144:147]// 00000000486C: D3F30090 1E420DA6
	ds_read_b128 a[64:67], v2                                  // 000000004874: DBFE0000 40000002
	ds_read_b128 a[68:71], v2 offset:64                        // 00000000487C: DBFE0040 44000002
	v_mfma_f32_16x16x32_fp8_fp8 v[176:179], a[168:169], a[0:1], v[176:179]// 000000004884: D3F300B0 1EC201A8
	v_mfma_f32_16x16x32_fp8_fp8 v[176:179], a[170:171], a[2:3], v[176:179]// 00000000488C: D3F300B0 1EC205AA
	buffer_load_dwordx4 a[148:151], v78, s[84:87], 0 offen offset:1024// 000000004894: E05C1400 8095944E
	v_mfma_f32_16x16x32_fp8_fp8 v[176:179], a[172:173], a[4:5], v[176:179]// 00000000489C: D3F300B0 1EC209AC
	v_mfma_f32_16x16x32_fp8_fp8 v[176:179], a[174:175], a[6:7], v[176:179]// 0000000048A4: D3F300B0 1EC20DAE
	ds_read_b128 a[72:75], v2 offset:512                       // 0000000048AC: DBFE0200 48000002
	ds_read_b128 a[76:79], v2 offset:576                       // 0000000048B4: DBFE0240 4C000002
	v_mfma_f32_16x16x32_fp8_fp8 v[148:151], a[160:161], a[8:9], v[148:151]// 0000000048BC: D3F30094 1E5211A0
	v_mfma_f32_16x16x32_fp8_fp8 v[148:151], a[162:163], a[10:11], v[148:151]// 0000000048C4: D3F30094 1E5215A2
	buffer_load_dwordx4 a[152:155], v79, s[84:87], 0 offen     // 0000000048CC: E05C1000 8095984F
	v_mfma_f32_16x16x32_fp8_fp8 v[148:151], a[164:165], a[12:13], v[148:151]// 0000000048D4: D3F30094 1E5219A4
	v_mfma_f32_16x16x32_fp8_fp8 v[148:151], a[166:167], a[14:15], v[148:151]// 0000000048DC: D3F30094 1E521DA6
	ds_read_b128 a[80:83], v2 offset:1024                      // 0000000048E4: DBFE0400 50000002
	ds_read_b128 a[84:87], v2 offset:1088                      // 0000000048EC: DBFE0440 54000002
	v_mfma_f32_16x16x32_fp8_fp8 v[180:183], a[168:169], a[8:9], v[180:183]// 0000000048F4: D3F300B4 1ED211A8
	v_mfma_f32_16x16x32_fp8_fp8 v[180:183], a[170:171], a[10:11], v[180:183]// 0000000048FC: D3F300B4 1ED215AA
	buffer_load_dwordx4 a[156:159], v79, s[84:87], 0 offen offset:1024// 000000004904: E05C1400 80959C4F
	v_mfma_f32_16x16x32_fp8_fp8 v[180:183], a[172:173], a[12:13], v[180:183]// 00000000490C: D3F300B4 1ED219AC
	v_mfma_f32_16x16x32_fp8_fp8 v[180:183], a[174:175], a[14:15], v[180:183]// 000000004914: D3F300B4 1ED21DAE
	ds_read_b128 a[88:91], v2 offset:1536                      // 00000000491C: DBFE0600 58000002
	ds_read_b128 a[92:95], v2 offset:1600                      // 000000004924: DBFE0640 5C000002
	v_mfma_f32_16x16x32_fp8_fp8 v[152:155], a[160:161], a[16:17], v[152:155]// 00000000492C: D3F30098 1E6221A0
	v_mfma_f32_16x16x32_fp8_fp8 v[152:155], a[162:163], a[18:19], v[152:155]// 000000004934: D3F30098 1E6225A2
	v_mfma_f32_16x16x32_fp8_fp8 v[152:155], a[164:165], a[20:21], v[152:155]// 00000000493C: D3F30098 1E6229A4
	v_mfma_f32_16x16x32_fp8_fp8 v[152:155], a[166:167], a[22:23], v[152:155]// 000000004944: D3F30098 1E622DA6
	ds_read_b128 a[96:99], v2 offset:2048                      // 00000000494C: DBFE0800 60000002
	ds_read_b128 a[100:103], v2 offset:2112                    // 000000004954: DBFE0840 64000002
	v_mfma_f32_16x16x32_fp8_fp8 v[184:187], a[168:169], a[16:17], v[184:187]// 00000000495C: D3F300B8 1EE221A8
	v_mfma_f32_16x16x32_fp8_fp8 v[184:187], a[170:171], a[18:19], v[184:187]// 000000004964: D3F300B8 1EE225AA
	v_mfma_f32_16x16x32_fp8_fp8 v[184:187], a[172:173], a[20:21], v[184:187]// 00000000496C: D3F300B8 1EE229AC
	v_mfma_f32_16x16x32_fp8_fp8 v[184:187], a[174:175], a[22:23], v[184:187]// 000000004974: D3F300B8 1EE22DAE
	ds_read_b128 a[104:107], v2 offset:2560                    // 00000000497C: DBFE0A00 68000002
	ds_read_b128 a[108:111], v2 offset:2624                    // 000000004984: DBFE0A40 6C000002
	v_mfma_f32_16x16x32_fp8_fp8 v[156:159], a[160:161], a[24:25], v[156:159]// 00000000498C: D3F3009C 1E7231A0
	v_mfma_f32_16x16x32_fp8_fp8 v[156:159], a[162:163], a[26:27], v[156:159]// 000000004994: D3F3009C 1E7235A2
	v_mfma_f32_16x16x32_fp8_fp8 v[156:159], a[164:165], a[28:29], v[156:159]// 00000000499C: D3F3009C 1E7239A4
	v_mfma_f32_16x16x32_fp8_fp8 v[156:159], a[166:167], a[30:31], v[156:159]// 0000000049A4: D3F3009C 1E723DA6
	ds_read_b128 a[112:115], v2 offset:3072                    // 0000000049AC: DBFE0C00 70000002
	ds_read_b128 a[116:119], v2 offset:3136                    // 0000000049B4: DBFE0C40 74000002
	v_mfma_f32_16x16x32_fp8_fp8 v[188:191], a[168:169], a[24:25], v[188:191]// 0000000049BC: D3F300BC 1EF231A8
	v_mfma_f32_16x16x32_fp8_fp8 v[188:191], a[170:171], a[26:27], v[188:191]// 0000000049C4: D3F300BC 1EF235AA
	v_mfma_f32_16x16x32_fp8_fp8 v[188:191], a[172:173], a[28:29], v[188:191]// 0000000049CC: D3F300BC 1EF239AC
	v_mfma_f32_16x16x32_fp8_fp8 v[188:191], a[174:175], a[30:31], v[188:191]// 0000000049D4: D3F300BC 1EF23DAE
	ds_read_b128 a[120:123], v2 offset:3584                    // 0000000049DC: DBFE0E00 78000002
	ds_read_b128 a[124:127], v2 offset:3648                    // 0000000049E4: DBFE0E40 7C000002
	v_mfma_f32_16x16x32_fp8_fp8 v[160:163], a[160:161], a[32:33], v[160:163]// 0000000049EC: D3F300A0 1E8241A0
	v_mfma_f32_16x16x32_fp8_fp8 v[160:163], a[162:163], a[34:35], v[160:163]// 0000000049F4: D3F300A0 1E8245A2
	v_mfma_f32_16x16x32_fp8_fp8 v[160:163], a[164:165], a[36:37], v[160:163]// 0000000049FC: D3F300A0 1E8249A4
	v_mfma_f32_16x16x32_fp8_fp8 v[160:163], a[166:167], a[38:39], v[160:163]// 000000004A04: D3F300A0 1E824DA6
	v_mfma_f32_16x16x32_fp8_fp8 v[192:195], a[168:169], a[32:33], v[192:195]// 000000004A0C: D3F300C0 1F0241A8
	v_mfma_f32_16x16x32_fp8_fp8 v[192:195], a[170:171], a[34:35], v[192:195]// 000000004A14: D3F300C0 1F0245AA
	v_mfma_f32_16x16x32_fp8_fp8 v[192:195], a[172:173], a[36:37], v[192:195]// 000000004A1C: D3F300C0 1F0249AC
	v_mfma_f32_16x16x32_fp8_fp8 v[192:195], a[174:175], a[38:39], v[192:195]// 000000004A24: D3F300C0 1F024DAE
	v_mfma_f32_16x16x32_fp8_fp8 v[164:167], a[160:161], a[40:41], v[164:167]// 000000004A2C: D3F300A4 1E9251A0
	v_mfma_f32_16x16x32_fp8_fp8 v[164:167], a[162:163], a[42:43], v[164:167]// 000000004A34: D3F300A4 1E9255A2
	v_mfma_f32_16x16x32_fp8_fp8 v[164:167], a[164:165], a[44:45], v[164:167]// 000000004A3C: D3F300A4 1E9259A4
	v_mfma_f32_16x16x32_fp8_fp8 v[164:167], a[166:167], a[46:47], v[164:167]// 000000004A44: D3F300A4 1E925DA6
	v_mfma_f32_16x16x32_fp8_fp8 v[196:199], a[168:169], a[40:41], v[196:199]// 000000004A4C: D3F300C4 1F1251A8
	v_mfma_f32_16x16x32_fp8_fp8 v[196:199], a[170:171], a[42:43], v[196:199]// 000000004A54: D3F300C4 1F1255AA
	v_mfma_f32_16x16x32_fp8_fp8 v[196:199], a[172:173], a[44:45], v[196:199]// 000000004A5C: D3F300C4 1F1259AC
	v_mfma_f32_16x16x32_fp8_fp8 v[196:199], a[174:175], a[46:47], v[196:199]// 000000004A64: D3F300C4 1F125DAE
	v_mfma_f32_16x16x32_fp8_fp8 v[168:171], a[160:161], a[48:49], v[168:171]// 000000004A6C: D3F300A8 1EA261A0
	v_mfma_f32_16x16x32_fp8_fp8 v[168:171], a[162:163], a[50:51], v[168:171]// 000000004A74: D3F300A8 1EA265A2
	v_mfma_f32_16x16x32_fp8_fp8 v[168:171], a[164:165], a[52:53], v[168:171]// 000000004A7C: D3F300A8 1EA269A4
	v_mfma_f32_16x16x32_fp8_fp8 v[168:171], a[166:167], a[54:55], v[168:171]// 000000004A84: D3F300A8 1EA26DA6
	v_mfma_f32_16x16x32_fp8_fp8 v[200:203], a[168:169], a[48:49], v[200:203]// 000000004A8C: D3F300C8 1F2261A8
	v_mfma_f32_16x16x32_fp8_fp8 v[200:203], a[170:171], a[50:51], v[200:203]// 000000004A94: D3F300C8 1F2265AA
	v_mfma_f32_16x16x32_fp8_fp8 v[200:203], a[172:173], a[52:53], v[200:203]// 000000004A9C: D3F300C8 1F2269AC
	v_mfma_f32_16x16x32_fp8_fp8 v[200:203], a[174:175], a[54:55], v[200:203]// 000000004AA4: D3F300C8 1F226DAE
	v_mfma_f32_16x16x32_fp8_fp8 v[172:175], a[160:161], a[56:57], v[172:175]// 000000004AAC: D3F300AC 1EB271A0
	s_add_u32 s60, 0x180, s80                                  // 000000004AB4: 803C50FF 00000180
	s_cmp_lt_u32 s60, s81                                      // 000000004ABC: BF0A513C
	s_cselect_b32 s57, s57, 0                                  // 000000004AC0: 85398039
	v_mfma_f32_16x16x32_fp8_fp8 v[172:175], a[162:163], a[58:59], v[172:175]// 000000004AC4: D3F300AC 1EB275A2
	s_add_u32 s60, 0x100, s80                                  // 000000004ACC: 803C50FF 00000100
	s_cmp_lt_u32 s60, s81                                      // 000000004AD4: BF0A513C
	s_cselect_b32 s58, s58, 0                                  // 000000004AD8: 853A803A
	v_mfma_f32_16x16x32_fp8_fp8 v[172:175], a[164:165], a[60:61], v[172:175]// 000000004ADC: D3F300AC 1EB279A4
	s_add_u32 s60, 0x100, s80                                  // 000000004AE4: 803C50FF 00000100
	s_cmp_lt_u32 s60, s81                                      // 000000004AEC: BF0A513C
	s_cselect_b32 s83, s83, 0                                  // 000000004AF0: 85538053
	v_mfma_f32_16x16x32_fp8_fp8 v[172:175], a[166:167], a[62:63], v[172:175]// 000000004AF4: D3F300AC 1EB27DA6
	s_add_u32 s24, s58, s24                                    // 000000004AFC: 8018183A
	s_addc_u32 s25, 0, s25                                     // 000000004B00: 82191980
	v_mfma_f32_16x16x32_fp8_fp8 v[204:207], a[168:169], a[56:57], v[204:207]// 000000004B04: D3F300CC 1F3271A8
	s_add_u32 s20, s57, s20                                    // 000000004B0C: 80141439
	s_addc_u32 s21, 0, s21                                     // 000000004B10: 82151580
	v_mfma_f32_16x16x32_fp8_fp8 v[204:207], a[170:171], a[58:59], v[204:207]// 000000004B14: D3F300CC 1F3275AA
	s_add_u32 s84, s83, s84                                    // 000000004B1C: 80545453
	s_addc_u32 s85, 0, s85                                     // 000000004B20: 82555580
	v_mfma_f32_16x16x32_fp8_fp8 v[204:207], a[172:173], a[60:61], v[204:207]// 000000004B24: D3F300CC 1F3279AC
	v_mfma_f32_16x16x32_fp8_fp8 v[204:207], a[174:175], a[62:63], v[204:207]// 000000004B2C: D3F300CC 1F327DAE
	s_addk_i32 s80, 0x80                                       // 000000004B34: B7500080
	s_cmp_lt_i32 s80, s81                                      // 000000004B38: BF045150
	s_cbranch_scc0 label_0CE6                                  // 000000004B3C: BF840496
	s_waitcnt vmcnt(20) lgkmcnt(0)                             // 000000004B40: BF8C4074
	v_mfma_f32_16x16x32_fp8_fp8 v[80:83], a[128:129], a[64:65], v[80:83]// 000000004B44: D3F30050 1D428180
	v_mfma_f32_16x16x32_fp8_fp8 v[80:83], a[130:131], a[66:67], v[80:83]// 000000004B4C: D3F30050 1D428582
	buffer_load_dwordx4 a[160:163], v78, s[24:27], 0 offen     // 000000004B54: E05C1000 8086A04E
	v_mfma_f32_16x16x32_fp8_fp8 v[80:83], a[132:133], a[68:69], v[80:83]// 000000004B5C: D3F30050 1D428984
	v_mfma_f32_16x16x32_fp8_fp8 v[80:83], a[134:135], a[70:71], v[80:83]// 000000004B64: D3F30050 1D428D86
	v_mfma_f32_16x16x32_fp8_fp8 v[112:115], a[136:137], a[64:65], v[112:115]// 000000004B6C: D3F30070 1DC28188
	v_mfma_f32_16x16x32_fp8_fp8 v[112:115], a[138:139], a[66:67], v[112:115]// 000000004B74: D3F30070 1DC2858A
	buffer_load_dwordx4 a[164:167], v78, s[24:27], 0 offen offset:1024// 000000004B7C: E05C1400 8086A44E
	v_mfma_f32_16x16x32_fp8_fp8 v[112:115], a[140:141], a[68:69], v[112:115]// 000000004B84: D3F30070 1DC2898C
	v_mfma_f32_16x16x32_fp8_fp8 v[112:115], a[142:143], a[70:71], v[112:115]// 000000004B8C: D3F30070 1DC28D8E
	v_mfma_f32_16x16x32_fp8_fp8 v[84:87], a[128:129], a[72:73], v[84:87]// 000000004B94: D3F30054 1D529180
	v_mfma_f32_16x16x32_fp8_fp8 v[84:87], a[130:131], a[74:75], v[84:87]// 000000004B9C: D3F30054 1D529582
	buffer_load_dwordx4 a[168:171], v79, s[24:27], 0 offen     // 000000004BA4: E05C1000 8086A84F
	v_mfma_f32_16x16x32_fp8_fp8 v[84:87], a[132:133], a[76:77], v[84:87]// 000000004BAC: D3F30054 1D529984
	v_mfma_f32_16x16x32_fp8_fp8 v[84:87], a[134:135], a[78:79], v[84:87]// 000000004BB4: D3F30054 1D529D86
	v_mfma_f32_16x16x32_fp8_fp8 v[116:119], a[136:137], a[72:73], v[116:119]// 000000004BBC: D3F30074 1DD29188
	v_mfma_f32_16x16x32_fp8_fp8 v[116:119], a[138:139], a[74:75], v[116:119]// 000000004BC4: D3F30074 1DD2958A
	buffer_load_dwordx4 a[172:175], v79, s[24:27], 0 offen offset:1024// 000000004BCC: E05C1400 8086AC4F
	buffer_load_dword v62, s[20:23], 0 offen lds               // 000000004BD4: E0511000 8005003E
	s_add_u32 m0, 0x100, s50                                   // 000000004BDC: 807C32FF 00000100
	v_mfma_f32_16x16x32_fp8_fp8 v[116:119], a[140:141], a[76:77], v[116:119]// 000000004BE4: D3F30074 1DD2998C
	v_mfma_f32_16x16x32_fp8_fp8 v[116:119], a[142:143], a[78:79], v[116:119]// 000000004BEC: D3F30074 1DD29D8E
	buffer_load_dword v63, s[20:23], 0 offen lds               // 000000004BF4: E0511000 8005003F
	s_add_u32 m0, 0x200, s50                                   // 000000004BFC: 807C32FF 00000200
	v_mfma_f32_16x16x32_fp8_fp8 v[88:91], a[128:129], a[80:81], v[88:91]// 000000004C04: D3F30058 1D62A180
	v_mfma_f32_16x16x32_fp8_fp8 v[88:91], a[130:131], a[82:83], v[88:91]// 000000004C0C: D3F30058 1D62A582
	buffer_load_dword v64, s[20:23], 0 offen lds               // 000000004C14: E0511000 80050040
	s_add_u32 m0, 0x300, s50                                   // 000000004C1C: 807C32FF 00000300
	v_mfma_f32_16x16x32_fp8_fp8 v[88:91], a[132:133], a[84:85], v[88:91]// 000000004C24: D3F30058 1D62A984
	v_mfma_f32_16x16x32_fp8_fp8 v[88:91], a[134:135], a[86:87], v[88:91]// 000000004C2C: D3F30058 1D62AD86
	buffer_load_dword v65, s[20:23], 0 offen lds               // 000000004C34: E0511000 80050041
	s_add_u32 m0, 0x400, s50                                   // 000000004C3C: 807C32FF 00000400
	v_mfma_f32_16x16x32_fp8_fp8 v[120:123], a[136:137], a[80:81], v[120:123]// 000000004C44: D3F30078 1DE2A188
	v_mfma_f32_16x16x32_fp8_fp8 v[120:123], a[138:139], a[82:83], v[120:123]// 000000004C4C: D3F30078 1DE2A58A
	buffer_load_dword v66, s[20:23], 0 offen lds               // 000000004C54: E0511000 80050042
	s_add_u32 m0, 0x500, s50                                   // 000000004C5C: 807C32FF 00000500
	v_mfma_f32_16x16x32_fp8_fp8 v[120:123], a[140:141], a[84:85], v[120:123]// 000000004C64: D3F30078 1DE2A98C
	v_mfma_f32_16x16x32_fp8_fp8 v[120:123], a[142:143], a[86:87], v[120:123]// 000000004C6C: D3F30078 1DE2AD8E
	buffer_load_dword v67, s[20:23], 0 offen lds               // 000000004C74: E0511000 80050043
	s_add_u32 m0, 0x600, s50                                   // 000000004C7C: 807C32FF 00000600
	v_mfma_f32_16x16x32_fp8_fp8 v[92:95], a[128:129], a[88:89], v[92:95]// 000000004C84: D3F3005C 1D72B180
	v_mfma_f32_16x16x32_fp8_fp8 v[92:95], a[130:131], a[90:91], v[92:95]// 000000004C8C: D3F3005C 1D72B582
	buffer_load_dword v68, s[20:23], 0 offen lds               // 000000004C94: E0511000 80050044
	s_add_u32 m0, 0x700, s50                                   // 000000004C9C: 807C32FF 00000700
	v_mfma_f32_16x16x32_fp8_fp8 v[92:95], a[132:133], a[92:93], v[92:95]// 000000004CA4: D3F3005C 1D72B984
	v_mfma_f32_16x16x32_fp8_fp8 v[92:95], a[134:135], a[94:95], v[92:95]// 000000004CAC: D3F3005C 1D72BD86
	buffer_load_dword v69, s[20:23], 0 offen lds               // 000000004CB4: E0511000 80050045
	s_add_u32 m0, 0x800, s50                                   // 000000004CBC: 807C32FF 00000800
	v_mfma_f32_16x16x32_fp8_fp8 v[124:127], a[136:137], a[88:89], v[124:127]// 000000004CC4: D3F3007C 1DF2B188
	v_mfma_f32_16x16x32_fp8_fp8 v[124:127], a[138:139], a[90:91], v[124:127]// 000000004CCC: D3F3007C 1DF2B58A
	buffer_load_dword v70, s[20:23], 0 offen lds               // 000000004CD4: E0511000 80050046
	s_add_u32 m0, 0x900, s50                                   // 000000004CDC: 807C32FF 00000900
	v_mfma_f32_16x16x32_fp8_fp8 v[124:127], a[140:141], a[92:93], v[124:127]// 000000004CE4: D3F3007C 1DF2B98C
	v_mfma_f32_16x16x32_fp8_fp8 v[124:127], a[142:143], a[94:95], v[124:127]// 000000004CEC: D3F3007C 1DF2BD8E
	buffer_load_dword v71, s[20:23], 0 offen lds               // 000000004CF4: E0511000 80050047
	s_add_u32 m0, 0xa00, s50                                   // 000000004CFC: 807C32FF 00000A00
	v_mfma_f32_16x16x32_fp8_fp8 v[96:99], a[128:129], a[96:97], v[96:99]// 000000004D04: D3F30060 1D82C180
	v_mfma_f32_16x16x32_fp8_fp8 v[96:99], a[130:131], a[98:99], v[96:99]// 000000004D0C: D3F30060 1D82C582
	v_mfma_f32_16x16x32_fp8_fp8 v[96:99], a[132:133], a[100:101], v[96:99]// 000000004D14: D3F30060 1D82C984
	v_mfma_f32_16x16x32_fp8_fp8 v[96:99], a[134:135], a[102:103], v[96:99]// 000000004D1C: D3F30060 1D82CD86
	v_mfma_f32_16x16x32_fp8_fp8 v[128:131], a[136:137], a[96:97], v[128:131]// 000000004D24: D3F30080 1E02C188
	v_mfma_f32_16x16x32_fp8_fp8 v[128:131], a[138:139], a[98:99], v[128:131]// 000000004D2C: D3F30080 1E02C58A
	v_mfma_f32_16x16x32_fp8_fp8 v[128:131], a[140:141], a[100:101], v[128:131]// 000000004D34: D3F30080 1E02C98C
	v_mfma_f32_16x16x32_fp8_fp8 v[128:131], a[142:143], a[102:103], v[128:131]// 000000004D3C: D3F30080 1E02CD8E
	v_mfma_f32_16x16x32_fp8_fp8 v[100:103], a[128:129], a[104:105], v[100:103]// 000000004D44: D3F30064 1D92D180
	v_mfma_f32_16x16x32_fp8_fp8 v[100:103], a[130:131], a[106:107], v[100:103]// 000000004D4C: D3F30064 1D92D582
	buffer_load_dword v72, s[20:23], 0 offen lds               // 000000004D54: E0511000 80050048
	s_add_u32 m0, 0xb00, s50                                   // 000000004D5C: 807C32FF 00000B00
	v_mfma_f32_16x16x32_fp8_fp8 v[100:103], a[132:133], a[108:109], v[100:103]// 000000004D64: D3F30064 1D92D984
	v_mfma_f32_16x16x32_fp8_fp8 v[100:103], a[134:135], a[110:111], v[100:103]// 000000004D6C: D3F30064 1D92DD86
	buffer_load_dword v73, s[20:23], 0 offen lds               // 000000004D74: E0511000 80050049
	s_add_u32 m0, 0xc00, s50                                   // 000000004D7C: 807C32FF 00000C00
	v_mfma_f32_16x16x32_fp8_fp8 v[132:135], a[136:137], a[104:105], v[132:135]// 000000004D84: D3F30084 1E12D188
	v_mfma_f32_16x16x32_fp8_fp8 v[132:135], a[138:139], a[106:107], v[132:135]// 000000004D8C: D3F30084 1E12D58A
	buffer_load_dword v74, s[20:23], 0 offen lds               // 000000004D94: E0511000 8005004A
	s_add_u32 m0, 0xd00, s50                                   // 000000004D9C: 807C32FF 00000D00
	v_mfma_f32_16x16x32_fp8_fp8 v[132:135], a[140:141], a[108:109], v[132:135]// 000000004DA4: D3F30084 1E12D98C
	v_mfma_f32_16x16x32_fp8_fp8 v[132:135], a[142:143], a[110:111], v[132:135]// 000000004DAC: D3F30084 1E12DD8E
	buffer_load_dword v75, s[20:23], 0 offen lds               // 000000004DB4: E0511000 8005004B
	s_add_u32 m0, 0xe00, s50                                   // 000000004DBC: 807C32FF 00000E00
	v_mfma_f32_16x16x32_fp8_fp8 v[104:107], a[128:129], a[112:113], v[104:107]// 000000004DC4: D3F30068 1DA2E180
	v_mfma_f32_16x16x32_fp8_fp8 v[104:107], a[130:131], a[114:115], v[104:107]// 000000004DCC: D3F30068 1DA2E582
	v_mfma_f32_16x16x32_fp8_fp8 v[104:107], a[132:133], a[116:117], v[104:107]// 000000004DD4: D3F30068 1DA2E984
	v_mfma_f32_16x16x32_fp8_fp8 v[104:107], a[134:135], a[118:119], v[104:107]// 000000004DDC: D3F30068 1DA2ED86
	v_mfma_f32_16x16x32_fp8_fp8 v[136:139], a[136:137], a[112:113], v[136:139]// 000000004DE4: D3F30088 1E22E188
	v_mfma_f32_16x16x32_fp8_fp8 v[136:139], a[138:139], a[114:115], v[136:139]// 000000004DEC: D3F30088 1E22E58A
	v_mfma_f32_16x16x32_fp8_fp8 v[136:139], a[140:141], a[116:117], v[136:139]// 000000004DF4: D3F30088 1E22E98C
	v_mfma_f32_16x16x32_fp8_fp8 v[136:139], a[142:143], a[118:119], v[136:139]// 000000004DFC: D3F30088 1E22ED8E
	v_mfma_f32_16x16x32_fp8_fp8 v[108:111], a[128:129], a[120:121], v[108:111]// 000000004E04: D3F3006C 1DB2F180
	v_mfma_f32_16x16x32_fp8_fp8 v[108:111], a[130:131], a[122:123], v[108:111]// 000000004E0C: D3F3006C 1DB2F582
	buffer_load_dword v76, s[20:23], 0 offen lds               // 000000004E14: E0511000 8005004C
	s_add_u32 m0, 0xf00, s50                                   // 000000004E1C: 807C32FF 00000F00
	v_mfma_f32_16x16x32_fp8_fp8 v[108:111], a[132:133], a[124:125], v[108:111]// 000000004E24: D3F3006C 1DB2F984
	v_mfma_f32_16x16x32_fp8_fp8 v[108:111], a[134:135], a[126:127], v[108:111]// 000000004E2C: D3F3006C 1DB2FD86
	buffer_load_dword v77, s[20:23], 0 offen lds               // 000000004E34: E0511000 8005004D
	s_add_u32 m0, 0, s48                                       // 000000004E3C: 807C3080
	v_mfma_f32_16x16x32_fp8_fp8 v[140:143], a[136:137], a[120:121], v[140:143]// 000000004E40: D3F3008C 1E32F188
	v_mfma_f32_16x16x32_fp8_fp8 v[140:143], a[138:139], a[122:123], v[140:143]// 000000004E48: D3F3008C 1E32F58A
	v_mfma_f32_16x16x32_fp8_fp8 v[140:143], a[140:141], a[124:125], v[140:143]// 000000004E50: D3F3008C 1E32F98C
	v_mfma_f32_16x16x32_fp8_fp8 v[140:143], a[142:143], a[126:127], v[140:143]// 000000004E58: D3F3008C 1E32FD8E
	s_waitcnt vmcnt(20)                                        // 000000004E60: BF8C4F74
	s_barrier                                                  // 000000004E64: BF8A0000
	v_mfma_f32_16x16x32_fp8_fp8 v[144:147], a[144:145], a[64:65], v[144:147]// 000000004E68: D3F30090 1E428190
	v_mfma_f32_16x16x32_fp8_fp8 v[144:147], a[146:147], a[66:67], v[144:147]// 000000004E70: D3F30090 1E428592
	buffer_load_dwordx4 a[128:131], v78, s[84:87], 0 offen     // 000000004E78: E05C1000 8095804E
	v_mfma_f32_16x16x32_fp8_fp8 v[144:147], a[148:149], a[68:69], v[144:147]// 000000004E80: D3F30090 1E428994
	v_mfma_f32_16x16x32_fp8_fp8 v[144:147], a[150:151], a[70:71], v[144:147]// 000000004E88: D3F30090 1E428D96
	ds_read_b128 a[0:3], v2 offset:16512                       // 000000004E90: DBFE4080 00000002
	ds_read_b128 a[4:7], v2 offset:16576                       // 000000004E98: DBFE40C0 04000002
	v_mfma_f32_16x16x32_fp8_fp8 v[176:179], a[152:153], a[64:65], v[176:179]// 000000004EA0: D3F300B0 1EC28198
	v_mfma_f32_16x16x32_fp8_fp8 v[176:179], a[154:155], a[66:67], v[176:179]// 000000004EA8: D3F300B0 1EC2859A
	buffer_load_dwordx4 a[132:135], v78, s[84:87], 0 offen offset:1024// 000000004EB0: E05C1400 8095844E
	v_mfma_f32_16x16x32_fp8_fp8 v[176:179], a[156:157], a[68:69], v[176:179]// 000000004EB8: D3F300B0 1EC2899C
	v_mfma_f32_16x16x32_fp8_fp8 v[176:179], a[158:159], a[70:71], v[176:179]// 000000004EC0: D3F300B0 1EC28D9E
	ds_read_b128 a[8:11], v2 offset:17024                      // 000000004EC8: DBFE4280 08000002
	ds_read_b128 a[12:15], v2 offset:17088                     // 000000004ED0: DBFE42C0 0C000002
	v_mfma_f32_16x16x32_fp8_fp8 v[148:151], a[144:145], a[72:73], v[148:151]// 000000004ED8: D3F30094 1E529190
	v_mfma_f32_16x16x32_fp8_fp8 v[148:151], a[146:147], a[74:75], v[148:151]// 000000004EE0: D3F30094 1E529592
	buffer_load_dwordx4 a[136:139], v79, s[84:87], 0 offen     // 000000004EE8: E05C1000 8095884F
	v_mfma_f32_16x16x32_fp8_fp8 v[148:151], a[148:149], a[76:77], v[148:151]// 000000004EF0: D3F30094 1E529994
	v_mfma_f32_16x16x32_fp8_fp8 v[148:151], a[150:151], a[78:79], v[148:151]// 000000004EF8: D3F30094 1E529D96
	ds_read_b128 a[16:19], v2 offset:17536                     // 000000004F00: DBFE4480 10000002
	ds_read_b128 a[20:23], v2 offset:17600                     // 000000004F08: DBFE44C0 14000002
	v_mfma_f32_16x16x32_fp8_fp8 v[180:183], a[152:153], a[72:73], v[180:183]// 000000004F10: D3F300B4 1ED29198
	v_mfma_f32_16x16x32_fp8_fp8 v[180:183], a[154:155], a[74:75], v[180:183]// 000000004F18: D3F300B4 1ED2959A
	buffer_load_dwordx4 a[140:143], v79, s[84:87], 0 offen offset:1024// 000000004F20: E05C1400 80958C4F
	v_mfma_f32_16x16x32_fp8_fp8 v[180:183], a[156:157], a[76:77], v[180:183]// 000000004F28: D3F300B4 1ED2999C
	v_mfma_f32_16x16x32_fp8_fp8 v[180:183], a[158:159], a[78:79], v[180:183]// 000000004F30: D3F300B4 1ED29D9E
	ds_read_b128 a[24:27], v2 offset:18048                     // 000000004F38: DBFE4680 18000002
	ds_read_b128 a[28:31], v2 offset:18112                     // 000000004F40: DBFE46C0 1C000002
	v_mfma_f32_16x16x32_fp8_fp8 v[152:155], a[144:145], a[80:81], v[152:155]// 000000004F48: D3F30098 1E62A190
	v_mfma_f32_16x16x32_fp8_fp8 v[152:155], a[146:147], a[82:83], v[152:155]// 000000004F50: D3F30098 1E62A592
	v_mfma_f32_16x16x32_fp8_fp8 v[152:155], a[148:149], a[84:85], v[152:155]// 000000004F58: D3F30098 1E62A994
	v_mfma_f32_16x16x32_fp8_fp8 v[152:155], a[150:151], a[86:87], v[152:155]// 000000004F60: D3F30098 1E62AD96
	ds_read_b128 a[32:35], v2 offset:18560                     // 000000004F68: DBFE4880 20000002
	ds_read_b128 a[36:39], v2 offset:18624                     // 000000004F70: DBFE48C0 24000002
	v_mfma_f32_16x16x32_fp8_fp8 v[184:187], a[152:153], a[80:81], v[184:187]// 000000004F78: D3F300B8 1EE2A198
	v_mfma_f32_16x16x32_fp8_fp8 v[184:187], a[154:155], a[82:83], v[184:187]// 000000004F80: D3F300B8 1EE2A59A
	v_mfma_f32_16x16x32_fp8_fp8 v[184:187], a[156:157], a[84:85], v[184:187]// 000000004F88: D3F300B8 1EE2A99C
	v_mfma_f32_16x16x32_fp8_fp8 v[184:187], a[158:159], a[86:87], v[184:187]// 000000004F90: D3F300B8 1EE2AD9E
	ds_read_b128 a[40:43], v2 offset:19072                     // 000000004F98: DBFE4A80 28000002
	ds_read_b128 a[44:47], v2 offset:19136                     // 000000004FA0: DBFE4AC0 2C000002
	v_mfma_f32_16x16x32_fp8_fp8 v[156:159], a[144:145], a[88:89], v[156:159]// 000000004FA8: D3F3009C 1E72B190
	v_mfma_f32_16x16x32_fp8_fp8 v[156:159], a[146:147], a[90:91], v[156:159]// 000000004FB0: D3F3009C 1E72B592
	v_mfma_f32_16x16x32_fp8_fp8 v[156:159], a[148:149], a[92:93], v[156:159]// 000000004FB8: D3F3009C 1E72B994
	v_mfma_f32_16x16x32_fp8_fp8 v[156:159], a[150:151], a[94:95], v[156:159]// 000000004FC0: D3F3009C 1E72BD96
	ds_read_b128 a[48:51], v2 offset:19584                     // 000000004FC8: DBFE4C80 30000002
	ds_read_b128 a[52:55], v2 offset:19648                     // 000000004FD0: DBFE4CC0 34000002
	v_mfma_f32_16x16x32_fp8_fp8 v[188:191], a[152:153], a[88:89], v[188:191]// 000000004FD8: D3F300BC 1EF2B198
	v_mfma_f32_16x16x32_fp8_fp8 v[188:191], a[154:155], a[90:91], v[188:191]// 000000004FE0: D3F300BC 1EF2B59A
	v_mfma_f32_16x16x32_fp8_fp8 v[188:191], a[156:157], a[92:93], v[188:191]// 000000004FE8: D3F300BC 1EF2B99C
	v_mfma_f32_16x16x32_fp8_fp8 v[188:191], a[158:159], a[94:95], v[188:191]// 000000004FF0: D3F300BC 1EF2BD9E
	ds_read_b128 a[56:59], v2 offset:20096                     // 000000004FF8: DBFE4E80 38000002
	ds_read_b128 a[60:63], v2 offset:20160                     // 000000005000: DBFE4EC0 3C000002
	v_mfma_f32_16x16x32_fp8_fp8 v[160:163], a[144:145], a[96:97], v[160:163]// 000000005008: D3F300A0 1E82C190
	v_mfma_f32_16x16x32_fp8_fp8 v[160:163], a[146:147], a[98:99], v[160:163]// 000000005010: D3F300A0 1E82C592
	v_mfma_f32_16x16x32_fp8_fp8 v[160:163], a[148:149], a[100:101], v[160:163]// 000000005018: D3F300A0 1E82C994
	v_mfma_f32_16x16x32_fp8_fp8 v[160:163], a[150:151], a[102:103], v[160:163]// 000000005020: D3F300A0 1E82CD96
	v_mfma_f32_16x16x32_fp8_fp8 v[192:195], a[152:153], a[96:97], v[192:195]// 000000005028: D3F300C0 1F02C198
	v_mfma_f32_16x16x32_fp8_fp8 v[192:195], a[154:155], a[98:99], v[192:195]// 000000005030: D3F300C0 1F02C59A
	v_mfma_f32_16x16x32_fp8_fp8 v[192:195], a[156:157], a[100:101], v[192:195]// 000000005038: D3F300C0 1F02C99C
	v_mfma_f32_16x16x32_fp8_fp8 v[192:195], a[158:159], a[102:103], v[192:195]// 000000005040: D3F300C0 1F02CD9E
	v_mfma_f32_16x16x32_fp8_fp8 v[164:167], a[144:145], a[104:105], v[164:167]// 000000005048: D3F300A4 1E92D190
	v_mfma_f32_16x16x32_fp8_fp8 v[164:167], a[146:147], a[106:107], v[164:167]// 000000005050: D3F300A4 1E92D592
	v_mfma_f32_16x16x32_fp8_fp8 v[164:167], a[148:149], a[108:109], v[164:167]// 000000005058: D3F300A4 1E92D994
	v_mfma_f32_16x16x32_fp8_fp8 v[164:167], a[150:151], a[110:111], v[164:167]// 000000005060: D3F300A4 1E92DD96
	v_mfma_f32_16x16x32_fp8_fp8 v[196:199], a[152:153], a[104:105], v[196:199]// 000000005068: D3F300C4 1F12D198
	v_mfma_f32_16x16x32_fp8_fp8 v[196:199], a[154:155], a[106:107], v[196:199]// 000000005070: D3F300C4 1F12D59A
	v_mfma_f32_16x16x32_fp8_fp8 v[196:199], a[156:157], a[108:109], v[196:199]// 000000005078: D3F300C4 1F12D99C
	v_mfma_f32_16x16x32_fp8_fp8 v[196:199], a[158:159], a[110:111], v[196:199]// 000000005080: D3F300C4 1F12DD9E
	v_mfma_f32_16x16x32_fp8_fp8 v[168:171], a[144:145], a[112:113], v[168:171]// 000000005088: D3F300A8 1EA2E190
	v_mfma_f32_16x16x32_fp8_fp8 v[168:171], a[146:147], a[114:115], v[168:171]// 000000005090: D3F300A8 1EA2E592
	v_mfma_f32_16x16x32_fp8_fp8 v[168:171], a[148:149], a[116:117], v[168:171]// 000000005098: D3F300A8 1EA2E994
	v_mfma_f32_16x16x32_fp8_fp8 v[168:171], a[150:151], a[118:119], v[168:171]// 0000000050A0: D3F300A8 1EA2ED96
	v_mfma_f32_16x16x32_fp8_fp8 v[200:203], a[152:153], a[112:113], v[200:203]// 0000000050A8: D3F300C8 1F22E198
	v_mfma_f32_16x16x32_fp8_fp8 v[200:203], a[154:155], a[114:115], v[200:203]// 0000000050B0: D3F300C8 1F22E59A
	v_mfma_f32_16x16x32_fp8_fp8 v[200:203], a[156:157], a[116:117], v[200:203]// 0000000050B8: D3F300C8 1F22E99C
	v_mfma_f32_16x16x32_fp8_fp8 v[200:203], a[158:159], a[118:119], v[200:203]// 0000000050C0: D3F300C8 1F22ED9E
	v_mfma_f32_16x16x32_fp8_fp8 v[172:175], a[144:145], a[120:121], v[172:175]// 0000000050C8: D3F300AC 1EB2F190
	s_add_u32 s60, 0x180, s80                                  // 0000000050D0: 803C50FF 00000180
	s_cmp_lt_u32 s60, s81                                      // 0000000050D8: BF0A513C
	s_cselect_b32 s57, s57, 0                                  // 0000000050DC: 85398039
	v_mfma_f32_16x16x32_fp8_fp8 v[172:175], a[146:147], a[122:123], v[172:175]// 0000000050E0: D3F300AC 1EB2F592
	s_add_u32 s60, 0x100, s80                                  // 0000000050E8: 803C50FF 00000100
	s_cmp_lt_u32 s60, s81                                      // 0000000050F0: BF0A513C
	s_cselect_b32 s58, s58, 0                                  // 0000000050F4: 853A803A
	v_mfma_f32_16x16x32_fp8_fp8 v[172:175], a[148:149], a[124:125], v[172:175]// 0000000050F8: D3F300AC 1EB2F994
	s_add_u32 s60, 0x100, s80                                  // 000000005100: 803C50FF 00000100
	s_cmp_lt_u32 s60, s81                                      // 000000005108: BF0A513C
	s_cselect_b32 s83, s83, 0                                  // 00000000510C: 85538053
	v_mfma_f32_16x16x32_fp8_fp8 v[172:175], a[150:151], a[126:127], v[172:175]// 000000005110: D3F300AC 1EB2FD96
	s_add_u32 s24, s58, s24                                    // 000000005118: 8018183A
	s_addc_u32 s25, 0, s25                                     // 00000000511C: 82191980
	v_mfma_f32_16x16x32_fp8_fp8 v[204:207], a[152:153], a[120:121], v[204:207]// 000000005120: D3F300CC 1F32F198
	s_add_u32 s20, s57, s20                                    // 000000005128: 80141439
	s_addc_u32 s21, 0, s21                                     // 00000000512C: 82151580
	v_mfma_f32_16x16x32_fp8_fp8 v[204:207], a[154:155], a[122:123], v[204:207]// 000000005130: D3F300CC 1F32F59A
	s_add_u32 s84, s83, s84                                    // 000000005138: 80545453
	s_addc_u32 s85, 0, s85                                     // 00000000513C: 82555580
	v_mfma_f32_16x16x32_fp8_fp8 v[204:207], a[156:157], a[124:125], v[204:207]// 000000005140: D3F300CC 1F32F99C
	v_mfma_f32_16x16x32_fp8_fp8 v[204:207], a[158:159], a[126:127], v[204:207]// 000000005148: D3F300CC 1F32FD9E
	s_addk_i32 s80, 0x80                                       // 000000005150: B7500080
	s_cmp_lt_i32 s80, s81                                      // 000000005154: BF045150
	s_cbranch_scc0 label_0CE6                                  // 000000005158: BF84030F
	s_waitcnt vmcnt(20) lgkmcnt(0)                             // 00000000515C: BF8C4074
	v_mfma_f32_16x16x32_fp8_fp8 v[80:83], a[160:161], a[0:1], v[80:83]// 000000005160: D3F30050 1D4201A0
	v_mfma_f32_16x16x32_fp8_fp8 v[80:83], a[162:163], a[2:3], v[80:83]// 000000005168: D3F30050 1D4205A2
	buffer_load_dwordx4 a[144:147], v78, s[24:27], 0 offen     // 000000005170: E05C1000 8086904E
	v_mfma_f32_16x16x32_fp8_fp8 v[80:83], a[164:165], a[4:5], v[80:83]// 000000005178: D3F30050 1D4209A4
	v_mfma_f32_16x16x32_fp8_fp8 v[80:83], a[166:167], a[6:7], v[80:83]// 000000005180: D3F30050 1D420DA6
	v_mfma_f32_16x16x32_fp8_fp8 v[112:115], a[168:169], a[0:1], v[112:115]// 000000005188: D3F30070 1DC201A8
	v_mfma_f32_16x16x32_fp8_fp8 v[112:115], a[170:171], a[2:3], v[112:115]// 000000005190: D3F30070 1DC205AA
	buffer_load_dwordx4 a[148:151], v78, s[24:27], 0 offen offset:1024// 000000005198: E05C1400 8086944E
	v_mfma_f32_16x16x32_fp8_fp8 v[112:115], a[172:173], a[4:5], v[112:115]// 0000000051A0: D3F30070 1DC209AC
	v_mfma_f32_16x16x32_fp8_fp8 v[112:115], a[174:175], a[6:7], v[112:115]// 0000000051A8: D3F30070 1DC20DAE
	v_mfma_f32_16x16x32_fp8_fp8 v[84:87], a[160:161], a[8:9], v[84:87]// 0000000051B0: D3F30054 1D5211A0
	v_mfma_f32_16x16x32_fp8_fp8 v[84:87], a[162:163], a[10:11], v[84:87]// 0000000051B8: D3F30054 1D5215A2
	buffer_load_dwordx4 a[152:155], v79, s[24:27], 0 offen     // 0000000051C0: E05C1000 8086984F
	v_mfma_f32_16x16x32_fp8_fp8 v[84:87], a[164:165], a[12:13], v[84:87]// 0000000051C8: D3F30054 1D5219A4
	v_mfma_f32_16x16x32_fp8_fp8 v[84:87], a[166:167], a[14:15], v[84:87]// 0000000051D0: D3F30054 1D521DA6
	v_mfma_f32_16x16x32_fp8_fp8 v[116:119], a[168:169], a[8:9], v[116:119]// 0000000051D8: D3F30074 1DD211A8
	v_mfma_f32_16x16x32_fp8_fp8 v[116:119], a[170:171], a[10:11], v[116:119]// 0000000051E0: D3F30074 1DD215AA
	buffer_load_dwordx4 a[156:159], v79, s[24:27], 0 offen offset:1024// 0000000051E8: E05C1400 80869C4F
	buffer_load_dword v62, s[20:23], 0 offen lds               // 0000000051F0: E0511000 8005003E
	s_add_u32 m0, 0x100, s48                                   // 0000000051F8: 807C30FF 00000100
	v_mfma_f32_16x16x32_fp8_fp8 v[116:119], a[172:173], a[12:13], v[116:119]// 000000005200: D3F30074 1DD219AC
	v_mfma_f32_16x16x32_fp8_fp8 v[116:119], a[174:175], a[14:15], v[116:119]// 000000005208: D3F30074 1DD21DAE
	buffer_load_dword v63, s[20:23], 0 offen lds               // 000000005210: E0511000 8005003F
	s_add_u32 m0, 0x200, s48                                   // 000000005218: 807C30FF 00000200
	v_mfma_f32_16x16x32_fp8_fp8 v[88:91], a[160:161], a[16:17], v[88:91]// 000000005220: D3F30058 1D6221A0
	v_mfma_f32_16x16x32_fp8_fp8 v[88:91], a[162:163], a[18:19], v[88:91]// 000000005228: D3F30058 1D6225A2
	buffer_load_dword v64, s[20:23], 0 offen lds               // 000000005230: E0511000 80050040
	s_add_u32 m0, 0x300, s48                                   // 000000005238: 807C30FF 00000300
	v_mfma_f32_16x16x32_fp8_fp8 v[88:91], a[164:165], a[20:21], v[88:91]// 000000005240: D3F30058 1D6229A4
	v_mfma_f32_16x16x32_fp8_fp8 v[88:91], a[166:167], a[22:23], v[88:91]// 000000005248: D3F30058 1D622DA6
	buffer_load_dword v65, s[20:23], 0 offen lds               // 000000005250: E0511000 80050041
	s_add_u32 m0, 0x400, s48                                   // 000000005258: 807C30FF 00000400
	v_mfma_f32_16x16x32_fp8_fp8 v[120:123], a[168:169], a[16:17], v[120:123]// 000000005260: D3F30078 1DE221A8
	v_mfma_f32_16x16x32_fp8_fp8 v[120:123], a[170:171], a[18:19], v[120:123]// 000000005268: D3F30078 1DE225AA
	buffer_load_dword v66, s[20:23], 0 offen lds               // 000000005270: E0511000 80050042
	s_add_u32 m0, 0x500, s48                                   // 000000005278: 807C30FF 00000500
	v_mfma_f32_16x16x32_fp8_fp8 v[120:123], a[172:173], a[20:21], v[120:123]// 000000005280: D3F30078 1DE229AC
	v_mfma_f32_16x16x32_fp8_fp8 v[120:123], a[174:175], a[22:23], v[120:123]// 000000005288: D3F30078 1DE22DAE
	buffer_load_dword v67, s[20:23], 0 offen lds               // 000000005290: E0511000 80050043
	s_add_u32 m0, 0x600, s48                                   // 000000005298: 807C30FF 00000600
	v_mfma_f32_16x16x32_fp8_fp8 v[92:95], a[160:161], a[24:25], v[92:95]// 0000000052A0: D3F3005C 1D7231A0
	v_mfma_f32_16x16x32_fp8_fp8 v[92:95], a[162:163], a[26:27], v[92:95]// 0000000052A8: D3F3005C 1D7235A2
	buffer_load_dword v68, s[20:23], 0 offen lds               // 0000000052B0: E0511000 80050044
	s_add_u32 m0, 0x700, s48                                   // 0000000052B8: 807C30FF 00000700
	v_mfma_f32_16x16x32_fp8_fp8 v[92:95], a[164:165], a[28:29], v[92:95]// 0000000052C0: D3F3005C 1D7239A4
	v_mfma_f32_16x16x32_fp8_fp8 v[92:95], a[166:167], a[30:31], v[92:95]// 0000000052C8: D3F3005C 1D723DA6
	buffer_load_dword v69, s[20:23], 0 offen lds               // 0000000052D0: E0511000 80050045
	s_add_u32 m0, 0x800, s48                                   // 0000000052D8: 807C30FF 00000800
	v_mfma_f32_16x16x32_fp8_fp8 v[124:127], a[168:169], a[24:25], v[124:127]// 0000000052E0: D3F3007C 1DF231A8
	v_mfma_f32_16x16x32_fp8_fp8 v[124:127], a[170:171], a[26:27], v[124:127]// 0000000052E8: D3F3007C 1DF235AA
	buffer_load_dword v70, s[20:23], 0 offen lds               // 0000000052F0: E0511000 80050046
	s_add_u32 m0, 0x900, s48                                   // 0000000052F8: 807C30FF 00000900
	v_mfma_f32_16x16x32_fp8_fp8 v[124:127], a[172:173], a[28:29], v[124:127]// 000000005300: D3F3007C 1DF239AC
	v_mfma_f32_16x16x32_fp8_fp8 v[124:127], a[174:175], a[30:31], v[124:127]// 000000005308: D3F3007C 1DF23DAE
	buffer_load_dword v71, s[20:23], 0 offen lds               // 000000005310: E0511000 80050047
	s_add_u32 m0, 0xa00, s48                                   // 000000005318: 807C30FF 00000A00
	v_mfma_f32_16x16x32_fp8_fp8 v[96:99], a[160:161], a[32:33], v[96:99]// 000000005320: D3F30060 1D8241A0
	v_mfma_f32_16x16x32_fp8_fp8 v[96:99], a[162:163], a[34:35], v[96:99]// 000000005328: D3F30060 1D8245A2
	v_mfma_f32_16x16x32_fp8_fp8 v[96:99], a[164:165], a[36:37], v[96:99]// 000000005330: D3F30060 1D8249A4
	v_mfma_f32_16x16x32_fp8_fp8 v[96:99], a[166:167], a[38:39], v[96:99]// 000000005338: D3F30060 1D824DA6
	v_mfma_f32_16x16x32_fp8_fp8 v[128:131], a[168:169], a[32:33], v[128:131]// 000000005340: D3F30080 1E0241A8
	v_mfma_f32_16x16x32_fp8_fp8 v[128:131], a[170:171], a[34:35], v[128:131]// 000000005348: D3F30080 1E0245AA
	v_mfma_f32_16x16x32_fp8_fp8 v[128:131], a[172:173], a[36:37], v[128:131]// 000000005350: D3F30080 1E0249AC
	v_mfma_f32_16x16x32_fp8_fp8 v[128:131], a[174:175], a[38:39], v[128:131]// 000000005358: D3F30080 1E024DAE
	v_mfma_f32_16x16x32_fp8_fp8 v[100:103], a[160:161], a[40:41], v[100:103]// 000000005360: D3F30064 1D9251A0
	v_mfma_f32_16x16x32_fp8_fp8 v[100:103], a[162:163], a[42:43], v[100:103]// 000000005368: D3F30064 1D9255A2
	buffer_load_dword v72, s[20:23], 0 offen lds               // 000000005370: E0511000 80050048
	s_add_u32 m0, 0xb00, s48                                   // 000000005378: 807C30FF 00000B00
	v_mfma_f32_16x16x32_fp8_fp8 v[100:103], a[164:165], a[44:45], v[100:103]// 000000005380: D3F30064 1D9259A4
	v_mfma_f32_16x16x32_fp8_fp8 v[100:103], a[166:167], a[46:47], v[100:103]// 000000005388: D3F30064 1D925DA6
	buffer_load_dword v73, s[20:23], 0 offen lds               // 000000005390: E0511000 80050049
	s_add_u32 m0, 0xc00, s48                                   // 000000005398: 807C30FF 00000C00
	v_mfma_f32_16x16x32_fp8_fp8 v[132:135], a[168:169], a[40:41], v[132:135]// 0000000053A0: D3F30084 1E1251A8
	v_mfma_f32_16x16x32_fp8_fp8 v[132:135], a[170:171], a[42:43], v[132:135]// 0000000053A8: D3F30084 1E1255AA
	buffer_load_dword v74, s[20:23], 0 offen lds               // 0000000053B0: E0511000 8005004A
	s_add_u32 m0, 0xd00, s48                                   // 0000000053B8: 807C30FF 00000D00
	v_mfma_f32_16x16x32_fp8_fp8 v[132:135], a[172:173], a[44:45], v[132:135]// 0000000053C0: D3F30084 1E1259AC
	v_mfma_f32_16x16x32_fp8_fp8 v[132:135], a[174:175], a[46:47], v[132:135]// 0000000053C8: D3F30084 1E125DAE
	buffer_load_dword v75, s[20:23], 0 offen lds               // 0000000053D0: E0511000 8005004B
	s_add_u32 m0, 0xe00, s48                                   // 0000000053D8: 807C30FF 00000E00
	v_mfma_f32_16x16x32_fp8_fp8 v[104:107], a[160:161], a[48:49], v[104:107]// 0000000053E0: D3F30068 1DA261A0
	v_mfma_f32_16x16x32_fp8_fp8 v[104:107], a[162:163], a[50:51], v[104:107]// 0000000053E8: D3F30068 1DA265A2
	v_mfma_f32_16x16x32_fp8_fp8 v[104:107], a[164:165], a[52:53], v[104:107]// 0000000053F0: D3F30068 1DA269A4
	v_mfma_f32_16x16x32_fp8_fp8 v[104:107], a[166:167], a[54:55], v[104:107]// 0000000053F8: D3F30068 1DA26DA6
	v_mfma_f32_16x16x32_fp8_fp8 v[136:139], a[168:169], a[48:49], v[136:139]// 000000005400: D3F30088 1E2261A8
	v_mfma_f32_16x16x32_fp8_fp8 v[136:139], a[170:171], a[50:51], v[136:139]// 000000005408: D3F30088 1E2265AA
	v_mfma_f32_16x16x32_fp8_fp8 v[136:139], a[172:173], a[52:53], v[136:139]// 000000005410: D3F30088 1E2269AC
	v_mfma_f32_16x16x32_fp8_fp8 v[136:139], a[174:175], a[54:55], v[136:139]// 000000005418: D3F30088 1E226DAE
	v_mfma_f32_16x16x32_fp8_fp8 v[108:111], a[160:161], a[56:57], v[108:111]// 000000005420: D3F3006C 1DB271A0
	v_mfma_f32_16x16x32_fp8_fp8 v[108:111], a[162:163], a[58:59], v[108:111]// 000000005428: D3F3006C 1DB275A2
	buffer_load_dword v76, s[20:23], 0 offen lds               // 000000005430: E0511000 8005004C
	s_add_u32 m0, 0xf00, s48                                   // 000000005438: 807C30FF 00000F00
	v_mfma_f32_16x16x32_fp8_fp8 v[108:111], a[164:165], a[60:61], v[108:111]// 000000005440: D3F3006C 1DB279A4
	v_mfma_f32_16x16x32_fp8_fp8 v[108:111], a[166:167], a[62:63], v[108:111]// 000000005448: D3F3006C 1DB27DA6
	buffer_load_dword v77, s[20:23], 0 offen lds               // 000000005450: E0511000 8005004D
	s_add_u32 m0, 0, s49                                       // 000000005458: 807C3180
	v_mfma_f32_16x16x32_fp8_fp8 v[140:143], a[168:169], a[56:57], v[140:143]// 00000000545C: D3F3008C 1E3271A8
	v_mfma_f32_16x16x32_fp8_fp8 v[140:143], a[170:171], a[58:59], v[140:143]// 000000005464: D3F3008C 1E3275AA
	v_mfma_f32_16x16x32_fp8_fp8 v[140:143], a[172:173], a[60:61], v[140:143]// 00000000546C: D3F3008C 1E3279AC
	v_mfma_f32_16x16x32_fp8_fp8 v[140:143], a[174:175], a[62:63], v[140:143]// 000000005474: D3F3008C 1E327DAE
	s_waitcnt vmcnt(20)                                        // 00000000547C: BF8C4F74
	s_barrier                                                  // 000000005480: BF8A0000
	v_mfma_f32_16x16x32_fp8_fp8 v[144:147], a[128:129], a[0:1], v[144:147]// 000000005484: D3F30090 1E420180
	v_mfma_f32_16x16x32_fp8_fp8 v[144:147], a[130:131], a[2:3], v[144:147]// 00000000548C: D3F30090 1E420582
	buffer_load_dwordx4 a[160:163], v78, s[84:87], 0 offen     // 000000005494: E05C1000 8095A04E
	v_mfma_f32_16x16x32_fp8_fp8 v[144:147], a[132:133], a[4:5], v[144:147]// 00000000549C: D3F30090 1E420984
	v_mfma_f32_16x16x32_fp8_fp8 v[144:147], a[134:135], a[6:7], v[144:147]// 0000000054A4: D3F30090 1E420D86
	ds_read_b128 a[64:67], v2 offset:33024                     // 0000000054AC: DBFE8100 40000002
	ds_read_b128 a[68:71], v2 offset:33088                     // 0000000054B4: DBFE8140 44000002
	v_mfma_f32_16x16x32_fp8_fp8 v[176:179], a[136:137], a[0:1], v[176:179]// 0000000054BC: D3F300B0 1EC20188
	v_mfma_f32_16x16x32_fp8_fp8 v[176:179], a[138:139], a[2:3], v[176:179]// 0000000054C4: D3F300B0 1EC2058A
	buffer_load_dwordx4 a[164:167], v78, s[84:87], 0 offen offset:1024// 0000000054CC: E05C1400 8095A44E
	v_mfma_f32_16x16x32_fp8_fp8 v[176:179], a[140:141], a[4:5], v[176:179]// 0000000054D4: D3F300B0 1EC2098C
	v_mfma_f32_16x16x32_fp8_fp8 v[176:179], a[142:143], a[6:7], v[176:179]// 0000000054DC: D3F300B0 1EC20D8E
	ds_read_b128 a[72:75], v2 offset:33536                     // 0000000054E4: DBFE8300 48000002
	ds_read_b128 a[76:79], v2 offset:33600                     // 0000000054EC: DBFE8340 4C000002
	v_mfma_f32_16x16x32_fp8_fp8 v[148:151], a[128:129], a[8:9], v[148:151]// 0000000054F4: D3F30094 1E521180
	v_mfma_f32_16x16x32_fp8_fp8 v[148:151], a[130:131], a[10:11], v[148:151]// 0000000054FC: D3F30094 1E521582
	buffer_load_dwordx4 a[168:171], v79, s[84:87], 0 offen     // 000000005504: E05C1000 8095A84F
	v_mfma_f32_16x16x32_fp8_fp8 v[148:151], a[132:133], a[12:13], v[148:151]// 00000000550C: D3F30094 1E521984
	v_mfma_f32_16x16x32_fp8_fp8 v[148:151], a[134:135], a[14:15], v[148:151]// 000000005514: D3F30094 1E521D86
	ds_read_b128 a[80:83], v2 offset:34048                     // 00000000551C: DBFE8500 50000002
	ds_read_b128 a[84:87], v2 offset:34112                     // 000000005524: DBFE8540 54000002
	v_mfma_f32_16x16x32_fp8_fp8 v[180:183], a[136:137], a[8:9], v[180:183]// 00000000552C: D3F300B4 1ED21188
	v_mfma_f32_16x16x32_fp8_fp8 v[180:183], a[138:139], a[10:11], v[180:183]// 000000005534: D3F300B4 1ED2158A
	buffer_load_dwordx4 a[172:175], v79, s[84:87], 0 offen offset:1024// 00000000553C: E05C1400 8095AC4F
	v_mfma_f32_16x16x32_fp8_fp8 v[180:183], a[140:141], a[12:13], v[180:183]// 000000005544: D3F300B4 1ED2198C
	v_mfma_f32_16x16x32_fp8_fp8 v[180:183], a[142:143], a[14:15], v[180:183]// 00000000554C: D3F300B4 1ED21D8E
	ds_read_b128 a[88:91], v2 offset:34560                     // 000000005554: DBFE8700 58000002
	ds_read_b128 a[92:95], v2 offset:34624                     // 00000000555C: DBFE8740 5C000002
	v_mfma_f32_16x16x32_fp8_fp8 v[152:155], a[128:129], a[16:17], v[152:155]// 000000005564: D3F30098 1E622180
	v_mfma_f32_16x16x32_fp8_fp8 v[152:155], a[130:131], a[18:19], v[152:155]// 00000000556C: D3F30098 1E622582
	v_mfma_f32_16x16x32_fp8_fp8 v[152:155], a[132:133], a[20:21], v[152:155]// 000000005574: D3F30098 1E622984
	v_mfma_f32_16x16x32_fp8_fp8 v[152:155], a[134:135], a[22:23], v[152:155]// 00000000557C: D3F30098 1E622D86
	ds_read_b128 a[96:99], v2 offset:35072                     // 000000005584: DBFE8900 60000002
	ds_read_b128 a[100:103], v2 offset:35136                   // 00000000558C: DBFE8940 64000002
	v_mfma_f32_16x16x32_fp8_fp8 v[184:187], a[136:137], a[16:17], v[184:187]// 000000005594: D3F300B8 1EE22188
	v_mfma_f32_16x16x32_fp8_fp8 v[184:187], a[138:139], a[18:19], v[184:187]// 00000000559C: D3F300B8 1EE2258A
	v_mfma_f32_16x16x32_fp8_fp8 v[184:187], a[140:141], a[20:21], v[184:187]// 0000000055A4: D3F300B8 1EE2298C
	v_mfma_f32_16x16x32_fp8_fp8 v[184:187], a[142:143], a[22:23], v[184:187]// 0000000055AC: D3F300B8 1EE22D8E
	ds_read_b128 a[104:107], v2 offset:35584                   // 0000000055B4: DBFE8B00 68000002
	ds_read_b128 a[108:111], v2 offset:35648                   // 0000000055BC: DBFE8B40 6C000002
	v_mfma_f32_16x16x32_fp8_fp8 v[156:159], a[128:129], a[24:25], v[156:159]// 0000000055C4: D3F3009C 1E723180
	v_mfma_f32_16x16x32_fp8_fp8 v[156:159], a[130:131], a[26:27], v[156:159]// 0000000055CC: D3F3009C 1E723582
	v_mfma_f32_16x16x32_fp8_fp8 v[156:159], a[132:133], a[28:29], v[156:159]// 0000000055D4: D3F3009C 1E723984
	v_mfma_f32_16x16x32_fp8_fp8 v[156:159], a[134:135], a[30:31], v[156:159]// 0000000055DC: D3F3009C 1E723D86
	ds_read_b128 a[112:115], v2 offset:36096                   // 0000000055E4: DBFE8D00 70000002
	ds_read_b128 a[116:119], v2 offset:36160                   // 0000000055EC: DBFE8D40 74000002
	v_mfma_f32_16x16x32_fp8_fp8 v[188:191], a[136:137], a[24:25], v[188:191]// 0000000055F4: D3F300BC 1EF23188
	v_mfma_f32_16x16x32_fp8_fp8 v[188:191], a[138:139], a[26:27], v[188:191]// 0000000055FC: D3F300BC 1EF2358A
	v_mfma_f32_16x16x32_fp8_fp8 v[188:191], a[140:141], a[28:29], v[188:191]// 000000005604: D3F300BC 1EF2398C
	v_mfma_f32_16x16x32_fp8_fp8 v[188:191], a[142:143], a[30:31], v[188:191]// 00000000560C: D3F300BC 1EF23D8E
	ds_read_b128 a[120:123], v2 offset:36608                   // 000000005614: DBFE8F00 78000002
	ds_read_b128 a[124:127], v2 offset:36672                   // 00000000561C: DBFE8F40 7C000002
	v_mfma_f32_16x16x32_fp8_fp8 v[160:163], a[128:129], a[32:33], v[160:163]// 000000005624: D3F300A0 1E824180
	v_mfma_f32_16x16x32_fp8_fp8 v[160:163], a[130:131], a[34:35], v[160:163]// 00000000562C: D3F300A0 1E824582
	v_mfma_f32_16x16x32_fp8_fp8 v[160:163], a[132:133], a[36:37], v[160:163]// 000000005634: D3F300A0 1E824984
	v_mfma_f32_16x16x32_fp8_fp8 v[160:163], a[134:135], a[38:39], v[160:163]// 00000000563C: D3F300A0 1E824D86
	v_mfma_f32_16x16x32_fp8_fp8 v[192:195], a[136:137], a[32:33], v[192:195]// 000000005644: D3F300C0 1F024188
	v_mfma_f32_16x16x32_fp8_fp8 v[192:195], a[138:139], a[34:35], v[192:195]// 00000000564C: D3F300C0 1F02458A
	v_mfma_f32_16x16x32_fp8_fp8 v[192:195], a[140:141], a[36:37], v[192:195]// 000000005654: D3F300C0 1F02498C
	v_mfma_f32_16x16x32_fp8_fp8 v[192:195], a[142:143], a[38:39], v[192:195]// 00000000565C: D3F300C0 1F024D8E
	v_mfma_f32_16x16x32_fp8_fp8 v[164:167], a[128:129], a[40:41], v[164:167]// 000000005664: D3F300A4 1E925180
	v_mfma_f32_16x16x32_fp8_fp8 v[164:167], a[130:131], a[42:43], v[164:167]// 00000000566C: D3F300A4 1E925582
	v_mfma_f32_16x16x32_fp8_fp8 v[164:167], a[132:133], a[44:45], v[164:167]// 000000005674: D3F300A4 1E925984
	v_mfma_f32_16x16x32_fp8_fp8 v[164:167], a[134:135], a[46:47], v[164:167]// 00000000567C: D3F300A4 1E925D86
	v_mfma_f32_16x16x32_fp8_fp8 v[196:199], a[136:137], a[40:41], v[196:199]// 000000005684: D3F300C4 1F125188
	v_mfma_f32_16x16x32_fp8_fp8 v[196:199], a[138:139], a[42:43], v[196:199]// 00000000568C: D3F300C4 1F12558A
	v_mfma_f32_16x16x32_fp8_fp8 v[196:199], a[140:141], a[44:45], v[196:199]// 000000005694: D3F300C4 1F12598C
	v_mfma_f32_16x16x32_fp8_fp8 v[196:199], a[142:143], a[46:47], v[196:199]// 00000000569C: D3F300C4 1F125D8E
	v_mfma_f32_16x16x32_fp8_fp8 v[168:171], a[128:129], a[48:49], v[168:171]// 0000000056A4: D3F300A8 1EA26180
	v_mfma_f32_16x16x32_fp8_fp8 v[168:171], a[130:131], a[50:51], v[168:171]// 0000000056AC: D3F300A8 1EA26582
	v_mfma_f32_16x16x32_fp8_fp8 v[168:171], a[132:133], a[52:53], v[168:171]// 0000000056B4: D3F300A8 1EA26984
	v_mfma_f32_16x16x32_fp8_fp8 v[168:171], a[134:135], a[54:55], v[168:171]// 0000000056BC: D3F300A8 1EA26D86
	v_mfma_f32_16x16x32_fp8_fp8 v[200:203], a[136:137], a[48:49], v[200:203]// 0000000056C4: D3F300C8 1F226188
	v_mfma_f32_16x16x32_fp8_fp8 v[200:203], a[138:139], a[50:51], v[200:203]// 0000000056CC: D3F300C8 1F22658A
	v_mfma_f32_16x16x32_fp8_fp8 v[200:203], a[140:141], a[52:53], v[200:203]// 0000000056D4: D3F300C8 1F22698C
	v_mfma_f32_16x16x32_fp8_fp8 v[200:203], a[142:143], a[54:55], v[200:203]// 0000000056DC: D3F300C8 1F226D8E
	v_mfma_f32_16x16x32_fp8_fp8 v[172:175], a[128:129], a[56:57], v[172:175]// 0000000056E4: D3F300AC 1EB27180
	s_add_u32 s60, 0x180, s80                                  // 0000000056EC: 803C50FF 00000180
	s_cmp_lt_u32 s60, s81                                      // 0000000056F4: BF0A513C
	s_cselect_b32 s57, s57, 0                                  // 0000000056F8: 85398039
	v_mfma_f32_16x16x32_fp8_fp8 v[172:175], a[130:131], a[58:59], v[172:175]// 0000000056FC: D3F300AC 1EB27582
	s_add_u32 s60, 0x100, s80                                  // 000000005704: 803C50FF 00000100
	s_cmp_lt_u32 s60, s81                                      // 00000000570C: BF0A513C
	s_cselect_b32 s58, s58, 0                                  // 000000005710: 853A803A
	v_mfma_f32_16x16x32_fp8_fp8 v[172:175], a[132:133], a[60:61], v[172:175]// 000000005714: D3F300AC 1EB27984
	s_add_u32 s60, 0x100, s80                                  // 00000000571C: 803C50FF 00000100
	s_cmp_lt_u32 s60, s81                                      // 000000005724: BF0A513C
	s_cselect_b32 s83, s83, 0                                  // 000000005728: 85538053
	v_mfma_f32_16x16x32_fp8_fp8 v[172:175], a[134:135], a[62:63], v[172:175]// 00000000572C: D3F300AC 1EB27D86
	s_add_u32 s24, s58, s24                                    // 000000005734: 8018183A
	s_addc_u32 s25, 0, s25                                     // 000000005738: 82191980
	v_mfma_f32_16x16x32_fp8_fp8 v[204:207], a[136:137], a[56:57], v[204:207]// 00000000573C: D3F300CC 1F327188
	s_add_u32 s20, s57, s20                                    // 000000005744: 80141439
	s_addc_u32 s21, 0, s21                                     // 000000005748: 82151580
	v_mfma_f32_16x16x32_fp8_fp8 v[204:207], a[138:139], a[58:59], v[204:207]// 00000000574C: D3F300CC 1F32758A
	s_add_u32 s84, s83, s84                                    // 000000005754: 80545453
	s_addc_u32 s85, 0, s85                                     // 000000005758: 82555580
	v_mfma_f32_16x16x32_fp8_fp8 v[204:207], a[140:141], a[60:61], v[204:207]// 00000000575C: D3F300CC 1F32798C
	v_mfma_f32_16x16x32_fp8_fp8 v[204:207], a[142:143], a[62:63], v[204:207]// 000000005764: D3F300CC 1F327D8E
	s_addk_i32 s80, 0x80                                       // 00000000576C: B7500080
	s_cmp_lt_i32 s80, s81                                      // 000000005770: BF045150
	s_cbranch_scc0 label_0CE6                                  // 000000005774: BF840188
	s_waitcnt vmcnt(20) lgkmcnt(0)                             // 000000005778: BF8C4074
	v_mfma_f32_16x16x32_fp8_fp8 v[80:83], a[144:145], a[64:65], v[80:83]// 00000000577C: D3F30050 1D428190
	v_mfma_f32_16x16x32_fp8_fp8 v[80:83], a[146:147], a[66:67], v[80:83]// 000000005784: D3F30050 1D428592
	buffer_load_dwordx4 a[128:131], v78, s[24:27], 0 offen     // 00000000578C: E05C1000 8086804E
	v_mfma_f32_16x16x32_fp8_fp8 v[80:83], a[148:149], a[68:69], v[80:83]// 000000005794: D3F30050 1D428994
	v_mfma_f32_16x16x32_fp8_fp8 v[80:83], a[150:151], a[70:71], v[80:83]// 00000000579C: D3F30050 1D428D96
	v_mfma_f32_16x16x32_fp8_fp8 v[112:115], a[152:153], a[64:65], v[112:115]// 0000000057A4: D3F30070 1DC28198
	v_mfma_f32_16x16x32_fp8_fp8 v[112:115], a[154:155], a[66:67], v[112:115]// 0000000057AC: D3F30070 1DC2859A
	buffer_load_dwordx4 a[132:135], v78, s[24:27], 0 offen offset:1024// 0000000057B4: E05C1400 8086844E
	v_mfma_f32_16x16x32_fp8_fp8 v[112:115], a[156:157], a[68:69], v[112:115]// 0000000057BC: D3F30070 1DC2899C
	v_mfma_f32_16x16x32_fp8_fp8 v[112:115], a[158:159], a[70:71], v[112:115]// 0000000057C4: D3F30070 1DC28D9E
	v_mfma_f32_16x16x32_fp8_fp8 v[84:87], a[144:145], a[72:73], v[84:87]// 0000000057CC: D3F30054 1D529190
	v_mfma_f32_16x16x32_fp8_fp8 v[84:87], a[146:147], a[74:75], v[84:87]// 0000000057D4: D3F30054 1D529592
	buffer_load_dwordx4 a[136:139], v79, s[24:27], 0 offen     // 0000000057DC: E05C1000 8086884F
	v_mfma_f32_16x16x32_fp8_fp8 v[84:87], a[148:149], a[76:77], v[84:87]// 0000000057E4: D3F30054 1D529994
	v_mfma_f32_16x16x32_fp8_fp8 v[84:87], a[150:151], a[78:79], v[84:87]// 0000000057EC: D3F30054 1D529D96
	v_mfma_f32_16x16x32_fp8_fp8 v[116:119], a[152:153], a[72:73], v[116:119]// 0000000057F4: D3F30074 1DD29198
	v_mfma_f32_16x16x32_fp8_fp8 v[116:119], a[154:155], a[74:75], v[116:119]// 0000000057FC: D3F30074 1DD2959A
	buffer_load_dwordx4 a[140:143], v79, s[24:27], 0 offen offset:1024// 000000005804: E05C1400 80868C4F
	buffer_load_dword v62, s[20:23], 0 offen lds               // 00000000580C: E0511000 8005003E
	s_add_u32 m0, 0x100, s49                                   // 000000005814: 807C31FF 00000100
	v_mfma_f32_16x16x32_fp8_fp8 v[116:119], a[156:157], a[76:77], v[116:119]// 00000000581C: D3F30074 1DD2999C
	v_mfma_f32_16x16x32_fp8_fp8 v[116:119], a[158:159], a[78:79], v[116:119]// 000000005824: D3F30074 1DD29D9E
	buffer_load_dword v63, s[20:23], 0 offen lds               // 00000000582C: E0511000 8005003F
	s_add_u32 m0, 0x200, s49                                   // 000000005834: 807C31FF 00000200
	v_mfma_f32_16x16x32_fp8_fp8 v[88:91], a[144:145], a[80:81], v[88:91]// 00000000583C: D3F30058 1D62A190
	v_mfma_f32_16x16x32_fp8_fp8 v[88:91], a[146:147], a[82:83], v[88:91]// 000000005844: D3F30058 1D62A592
	buffer_load_dword v64, s[20:23], 0 offen lds               // 00000000584C: E0511000 80050040
	s_add_u32 m0, 0x300, s49                                   // 000000005854: 807C31FF 00000300
	v_mfma_f32_16x16x32_fp8_fp8 v[88:91], a[148:149], a[84:85], v[88:91]// 00000000585C: D3F30058 1D62A994
	v_mfma_f32_16x16x32_fp8_fp8 v[88:91], a[150:151], a[86:87], v[88:91]// 000000005864: D3F30058 1D62AD96
	buffer_load_dword v65, s[20:23], 0 offen lds               // 00000000586C: E0511000 80050041
	s_add_u32 m0, 0x400, s49                                   // 000000005874: 807C31FF 00000400
	v_mfma_f32_16x16x32_fp8_fp8 v[120:123], a[152:153], a[80:81], v[120:123]// 00000000587C: D3F30078 1DE2A198
	v_mfma_f32_16x16x32_fp8_fp8 v[120:123], a[154:155], a[82:83], v[120:123]// 000000005884: D3F30078 1DE2A59A
	buffer_load_dword v66, s[20:23], 0 offen lds               // 00000000588C: E0511000 80050042
	s_add_u32 m0, 0x500, s49                                   // 000000005894: 807C31FF 00000500
	v_mfma_f32_16x16x32_fp8_fp8 v[120:123], a[156:157], a[84:85], v[120:123]// 00000000589C: D3F30078 1DE2A99C
	v_mfma_f32_16x16x32_fp8_fp8 v[120:123], a[158:159], a[86:87], v[120:123]// 0000000058A4: D3F30078 1DE2AD9E
	buffer_load_dword v67, s[20:23], 0 offen lds               // 0000000058AC: E0511000 80050043
	s_add_u32 m0, 0x600, s49                                   // 0000000058B4: 807C31FF 00000600
	v_mfma_f32_16x16x32_fp8_fp8 v[92:95], a[144:145], a[88:89], v[92:95]// 0000000058BC: D3F3005C 1D72B190
	v_mfma_f32_16x16x32_fp8_fp8 v[92:95], a[146:147], a[90:91], v[92:95]// 0000000058C4: D3F3005C 1D72B592
	buffer_load_dword v68, s[20:23], 0 offen lds               // 0000000058CC: E0511000 80050044
	s_add_u32 m0, 0x700, s49                                   // 0000000058D4: 807C31FF 00000700
	v_mfma_f32_16x16x32_fp8_fp8 v[92:95], a[148:149], a[92:93], v[92:95]// 0000000058DC: D3F3005C 1D72B994
	v_mfma_f32_16x16x32_fp8_fp8 v[92:95], a[150:151], a[94:95], v[92:95]// 0000000058E4: D3F3005C 1D72BD96
	buffer_load_dword v69, s[20:23], 0 offen lds               // 0000000058EC: E0511000 80050045
	s_add_u32 m0, 0x800, s49                                   // 0000000058F4: 807C31FF 00000800
	v_mfma_f32_16x16x32_fp8_fp8 v[124:127], a[152:153], a[88:89], v[124:127]// 0000000058FC: D3F3007C 1DF2B198
	v_mfma_f32_16x16x32_fp8_fp8 v[124:127], a[154:155], a[90:91], v[124:127]// 000000005904: D3F3007C 1DF2B59A
	buffer_load_dword v70, s[20:23], 0 offen lds               // 00000000590C: E0511000 80050046
	s_add_u32 m0, 0x900, s49                                   // 000000005914: 807C31FF 00000900
	v_mfma_f32_16x16x32_fp8_fp8 v[124:127], a[156:157], a[92:93], v[124:127]// 00000000591C: D3F3007C 1DF2B99C
	v_mfma_f32_16x16x32_fp8_fp8 v[124:127], a[158:159], a[94:95], v[124:127]// 000000005924: D3F3007C 1DF2BD9E
	buffer_load_dword v71, s[20:23], 0 offen lds               // 00000000592C: E0511000 80050047
	s_add_u32 m0, 0xa00, s49                                   // 000000005934: 807C31FF 00000A00
	v_mfma_f32_16x16x32_fp8_fp8 v[96:99], a[144:145], a[96:97], v[96:99]// 00000000593C: D3F30060 1D82C190
	v_mfma_f32_16x16x32_fp8_fp8 v[96:99], a[146:147], a[98:99], v[96:99]// 000000005944: D3F30060 1D82C592
	v_mfma_f32_16x16x32_fp8_fp8 v[96:99], a[148:149], a[100:101], v[96:99]// 00000000594C: D3F30060 1D82C994
	v_mfma_f32_16x16x32_fp8_fp8 v[96:99], a[150:151], a[102:103], v[96:99]// 000000005954: D3F30060 1D82CD96
	v_mfma_f32_16x16x32_fp8_fp8 v[128:131], a[152:153], a[96:97], v[128:131]// 00000000595C: D3F30080 1E02C198
	v_mfma_f32_16x16x32_fp8_fp8 v[128:131], a[154:155], a[98:99], v[128:131]// 000000005964: D3F30080 1E02C59A
	v_mfma_f32_16x16x32_fp8_fp8 v[128:131], a[156:157], a[100:101], v[128:131]// 00000000596C: D3F30080 1E02C99C
	v_mfma_f32_16x16x32_fp8_fp8 v[128:131], a[158:159], a[102:103], v[128:131]// 000000005974: D3F30080 1E02CD9E
	v_mfma_f32_16x16x32_fp8_fp8 v[100:103], a[144:145], a[104:105], v[100:103]// 00000000597C: D3F30064 1D92D190
	v_mfma_f32_16x16x32_fp8_fp8 v[100:103], a[146:147], a[106:107], v[100:103]// 000000005984: D3F30064 1D92D592
	buffer_load_dword v72, s[20:23], 0 offen lds               // 00000000598C: E0511000 80050048
	s_add_u32 m0, 0xb00, s49                                   // 000000005994: 807C31FF 00000B00
	v_mfma_f32_16x16x32_fp8_fp8 v[100:103], a[148:149], a[108:109], v[100:103]// 00000000599C: D3F30064 1D92D994
	v_mfma_f32_16x16x32_fp8_fp8 v[100:103], a[150:151], a[110:111], v[100:103]// 0000000059A4: D3F30064 1D92DD96
	buffer_load_dword v73, s[20:23], 0 offen lds               // 0000000059AC: E0511000 80050049
	s_add_u32 m0, 0xc00, s49                                   // 0000000059B4: 807C31FF 00000C00
	v_mfma_f32_16x16x32_fp8_fp8 v[132:135], a[152:153], a[104:105], v[132:135]// 0000000059BC: D3F30084 1E12D198
	v_mfma_f32_16x16x32_fp8_fp8 v[132:135], a[154:155], a[106:107], v[132:135]// 0000000059C4: D3F30084 1E12D59A
	buffer_load_dword v74, s[20:23], 0 offen lds               // 0000000059CC: E0511000 8005004A
	s_add_u32 m0, 0xd00, s49                                   // 0000000059D4: 807C31FF 00000D00
	v_mfma_f32_16x16x32_fp8_fp8 v[132:135], a[156:157], a[108:109], v[132:135]// 0000000059DC: D3F30084 1E12D99C
	v_mfma_f32_16x16x32_fp8_fp8 v[132:135], a[158:159], a[110:111], v[132:135]// 0000000059E4: D3F30084 1E12DD9E
	buffer_load_dword v75, s[20:23], 0 offen lds               // 0000000059EC: E0511000 8005004B
	s_add_u32 m0, 0xe00, s49                                   // 0000000059F4: 807C31FF 00000E00
	v_mfma_f32_16x16x32_fp8_fp8 v[104:107], a[144:145], a[112:113], v[104:107]// 0000000059FC: D3F30068 1DA2E190
	v_mfma_f32_16x16x32_fp8_fp8 v[104:107], a[146:147], a[114:115], v[104:107]// 000000005A04: D3F30068 1DA2E592
	v_mfma_f32_16x16x32_fp8_fp8 v[104:107], a[148:149], a[116:117], v[104:107]// 000000005A0C: D3F30068 1DA2E994
	v_mfma_f32_16x16x32_fp8_fp8 v[104:107], a[150:151], a[118:119], v[104:107]// 000000005A14: D3F30068 1DA2ED96
	v_mfma_f32_16x16x32_fp8_fp8 v[136:139], a[152:153], a[112:113], v[136:139]// 000000005A1C: D3F30088 1E22E198
	v_mfma_f32_16x16x32_fp8_fp8 v[136:139], a[154:155], a[114:115], v[136:139]// 000000005A24: D3F30088 1E22E59A
	v_mfma_f32_16x16x32_fp8_fp8 v[136:139], a[156:157], a[116:117], v[136:139]// 000000005A2C: D3F30088 1E22E99C
	v_mfma_f32_16x16x32_fp8_fp8 v[136:139], a[158:159], a[118:119], v[136:139]// 000000005A34: D3F30088 1E22ED9E
	v_mfma_f32_16x16x32_fp8_fp8 v[108:111], a[144:145], a[120:121], v[108:111]// 000000005A3C: D3F3006C 1DB2F190
	v_mfma_f32_16x16x32_fp8_fp8 v[108:111], a[146:147], a[122:123], v[108:111]// 000000005A44: D3F3006C 1DB2F592
	buffer_load_dword v76, s[20:23], 0 offen lds               // 000000005A4C: E0511000 8005004C
	s_add_u32 m0, 0xf00, s49                                   // 000000005A54: 807C31FF 00000F00
	v_mfma_f32_16x16x32_fp8_fp8 v[108:111], a[148:149], a[124:125], v[108:111]// 000000005A5C: D3F3006C 1DB2F994
	v_mfma_f32_16x16x32_fp8_fp8 v[108:111], a[150:151], a[126:127], v[108:111]// 000000005A64: D3F3006C 1DB2FD96
	buffer_load_dword v77, s[20:23], 0 offen lds               // 000000005A6C: E0511000 8005004D
	s_add_u32 m0, 0, s50                                       // 000000005A74: 807C3280
	v_mfma_f32_16x16x32_fp8_fp8 v[140:143], a[152:153], a[120:121], v[140:143]// 000000005A78: D3F3008C 1E32F198
	v_mfma_f32_16x16x32_fp8_fp8 v[140:143], a[154:155], a[122:123], v[140:143]// 000000005A80: D3F3008C 1E32F59A
	v_mfma_f32_16x16x32_fp8_fp8 v[140:143], a[156:157], a[124:125], v[140:143]// 000000005A88: D3F3008C 1E32F99C
	v_mfma_f32_16x16x32_fp8_fp8 v[140:143], a[158:159], a[126:127], v[140:143]// 000000005A90: D3F3008C 1E32FD9E
	s_waitcnt vmcnt(20)                                        // 000000005A98: BF8C4F74
	s_barrier                                                  // 000000005A9C: BF8A0000
	v_mfma_f32_16x16x32_fp8_fp8 v[144:147], a[160:161], a[64:65], v[144:147]// 000000005AA0: D3F30090 1E4281A0
	v_mfma_f32_16x16x32_fp8_fp8 v[144:147], a[162:163], a[66:67], v[144:147]// 000000005AA8: D3F30090 1E4285A2
	buffer_load_dwordx4 a[144:147], v78, s[84:87], 0 offen     // 000000005AB0: E05C1000 8095904E
	v_mfma_f32_16x16x32_fp8_fp8 v[144:147], a[164:165], a[68:69], v[144:147]// 000000005AB8: D3F30090 1E4289A4
	v_mfma_f32_16x16x32_fp8_fp8 v[144:147], a[166:167], a[70:71], v[144:147]// 000000005AC0: D3F30090 1E428DA6
	ds_read_b128 a[0:3], v2                                    // 000000005AC8: DBFE0000 00000002
	ds_read_b128 a[4:7], v2 offset:64                          // 000000005AD0: DBFE0040 04000002
	v_mfma_f32_16x16x32_fp8_fp8 v[176:179], a[168:169], a[64:65], v[176:179]// 000000005AD8: D3F300B0 1EC281A8
	v_mfma_f32_16x16x32_fp8_fp8 v[176:179], a[170:171], a[66:67], v[176:179]// 000000005AE0: D3F300B0 1EC285AA
	buffer_load_dwordx4 a[148:151], v78, s[84:87], 0 offen offset:1024// 000000005AE8: E05C1400 8095944E
	v_mfma_f32_16x16x32_fp8_fp8 v[176:179], a[172:173], a[68:69], v[176:179]// 000000005AF0: D3F300B0 1EC289AC
	v_mfma_f32_16x16x32_fp8_fp8 v[176:179], a[174:175], a[70:71], v[176:179]// 000000005AF8: D3F300B0 1EC28DAE
	ds_read_b128 a[8:11], v2 offset:512                        // 000000005B00: DBFE0200 08000002
	ds_read_b128 a[12:15], v2 offset:576                       // 000000005B08: DBFE0240 0C000002
	v_mfma_f32_16x16x32_fp8_fp8 v[148:151], a[160:161], a[72:73], v[148:151]// 000000005B10: D3F30094 1E5291A0
	v_mfma_f32_16x16x32_fp8_fp8 v[148:151], a[162:163], a[74:75], v[148:151]// 000000005B18: D3F30094 1E5295A2
	buffer_load_dwordx4 a[152:155], v79, s[84:87], 0 offen     // 000000005B20: E05C1000 8095984F
	v_mfma_f32_16x16x32_fp8_fp8 v[148:151], a[164:165], a[76:77], v[148:151]// 000000005B28: D3F30094 1E5299A4
	v_mfma_f32_16x16x32_fp8_fp8 v[148:151], a[166:167], a[78:79], v[148:151]// 000000005B30: D3F30094 1E529DA6
	ds_read_b128 a[16:19], v2 offset:1024                      // 000000005B38: DBFE0400 10000002
	ds_read_b128 a[20:23], v2 offset:1088                      // 000000005B40: DBFE0440 14000002
	v_mfma_f32_16x16x32_fp8_fp8 v[180:183], a[168:169], a[72:73], v[180:183]// 000000005B48: D3F300B4 1ED291A8
	v_mfma_f32_16x16x32_fp8_fp8 v[180:183], a[170:171], a[74:75], v[180:183]// 000000005B50: D3F300B4 1ED295AA
	buffer_load_dwordx4 a[156:159], v79, s[84:87], 0 offen offset:1024// 000000005B58: E05C1400 80959C4F
	v_mfma_f32_16x16x32_fp8_fp8 v[180:183], a[172:173], a[76:77], v[180:183]// 000000005B60: D3F300B4 1ED299AC
	v_mfma_f32_16x16x32_fp8_fp8 v[180:183], a[174:175], a[78:79], v[180:183]// 000000005B68: D3F300B4 1ED29DAE
	ds_read_b128 a[24:27], v2 offset:1536                      // 000000005B70: DBFE0600 18000002
	ds_read_b128 a[28:31], v2 offset:1600                      // 000000005B78: DBFE0640 1C000002
	v_mfma_f32_16x16x32_fp8_fp8 v[152:155], a[160:161], a[80:81], v[152:155]// 000000005B80: D3F30098 1E62A1A0
	v_mfma_f32_16x16x32_fp8_fp8 v[152:155], a[162:163], a[82:83], v[152:155]// 000000005B88: D3F30098 1E62A5A2
	v_mfma_f32_16x16x32_fp8_fp8 v[152:155], a[164:165], a[84:85], v[152:155]// 000000005B90: D3F30098 1E62A9A4
	v_mfma_f32_16x16x32_fp8_fp8 v[152:155], a[166:167], a[86:87], v[152:155]// 000000005B98: D3F30098 1E62ADA6
	ds_read_b128 a[32:35], v2 offset:2048                      // 000000005BA0: DBFE0800 20000002
	ds_read_b128 a[36:39], v2 offset:2112                      // 000000005BA8: DBFE0840 24000002
	v_mfma_f32_16x16x32_fp8_fp8 v[184:187], a[168:169], a[80:81], v[184:187]// 000000005BB0: D3F300B8 1EE2A1A8
	v_mfma_f32_16x16x32_fp8_fp8 v[184:187], a[170:171], a[82:83], v[184:187]// 000000005BB8: D3F300B8 1EE2A5AA
	v_mfma_f32_16x16x32_fp8_fp8 v[184:187], a[172:173], a[84:85], v[184:187]// 000000005BC0: D3F300B8 1EE2A9AC
	v_mfma_f32_16x16x32_fp8_fp8 v[184:187], a[174:175], a[86:87], v[184:187]// 000000005BC8: D3F300B8 1EE2ADAE
	ds_read_b128 a[40:43], v2 offset:2560                      // 000000005BD0: DBFE0A00 28000002
	ds_read_b128 a[44:47], v2 offset:2624                      // 000000005BD8: DBFE0A40 2C000002
	v_mfma_f32_16x16x32_fp8_fp8 v[156:159], a[160:161], a[88:89], v[156:159]// 000000005BE0: D3F3009C 1E72B1A0
	v_mfma_f32_16x16x32_fp8_fp8 v[156:159], a[162:163], a[90:91], v[156:159]// 000000005BE8: D3F3009C 1E72B5A2
	v_mfma_f32_16x16x32_fp8_fp8 v[156:159], a[164:165], a[92:93], v[156:159]// 000000005BF0: D3F3009C 1E72B9A4
	v_mfma_f32_16x16x32_fp8_fp8 v[156:159], a[166:167], a[94:95], v[156:159]// 000000005BF8: D3F3009C 1E72BDA6
	ds_read_b128 a[48:51], v2 offset:3072                      // 000000005C00: DBFE0C00 30000002
	ds_read_b128 a[52:55], v2 offset:3136                      // 000000005C08: DBFE0C40 34000002
	v_mfma_f32_16x16x32_fp8_fp8 v[188:191], a[168:169], a[88:89], v[188:191]// 000000005C10: D3F300BC 1EF2B1A8
	v_mfma_f32_16x16x32_fp8_fp8 v[188:191], a[170:171], a[90:91], v[188:191]// 000000005C18: D3F300BC 1EF2B5AA
	v_mfma_f32_16x16x32_fp8_fp8 v[188:191], a[172:173], a[92:93], v[188:191]// 000000005C20: D3F300BC 1EF2B9AC
	v_mfma_f32_16x16x32_fp8_fp8 v[188:191], a[174:175], a[94:95], v[188:191]// 000000005C28: D3F300BC 1EF2BDAE
	ds_read_b128 a[56:59], v2 offset:3584                      // 000000005C30: DBFE0E00 38000002
	ds_read_b128 a[60:63], v2 offset:3648                      // 000000005C38: DBFE0E40 3C000002
	v_mfma_f32_16x16x32_fp8_fp8 v[160:163], a[160:161], a[96:97], v[160:163]// 000000005C40: D3F300A0 1E82C1A0
	v_mfma_f32_16x16x32_fp8_fp8 v[160:163], a[162:163], a[98:99], v[160:163]// 000000005C48: D3F300A0 1E82C5A2
	v_mfma_f32_16x16x32_fp8_fp8 v[160:163], a[164:165], a[100:101], v[160:163]// 000000005C50: D3F300A0 1E82C9A4
	v_mfma_f32_16x16x32_fp8_fp8 v[160:163], a[166:167], a[102:103], v[160:163]// 000000005C58: D3F300A0 1E82CDA6
	v_mfma_f32_16x16x32_fp8_fp8 v[192:195], a[168:169], a[96:97], v[192:195]// 000000005C60: D3F300C0 1F02C1A8
	v_mfma_f32_16x16x32_fp8_fp8 v[192:195], a[170:171], a[98:99], v[192:195]// 000000005C68: D3F300C0 1F02C5AA
	v_mfma_f32_16x16x32_fp8_fp8 v[192:195], a[172:173], a[100:101], v[192:195]// 000000005C70: D3F300C0 1F02C9AC
	v_mfma_f32_16x16x32_fp8_fp8 v[192:195], a[174:175], a[102:103], v[192:195]// 000000005C78: D3F300C0 1F02CDAE
	v_mfma_f32_16x16x32_fp8_fp8 v[164:167], a[160:161], a[104:105], v[164:167]// 000000005C80: D3F300A4 1E92D1A0
	v_mfma_f32_16x16x32_fp8_fp8 v[164:167], a[162:163], a[106:107], v[164:167]// 000000005C88: D3F300A4 1E92D5A2
	v_mfma_f32_16x16x32_fp8_fp8 v[164:167], a[164:165], a[108:109], v[164:167]// 000000005C90: D3F300A4 1E92D9A4
	v_mfma_f32_16x16x32_fp8_fp8 v[164:167], a[166:167], a[110:111], v[164:167]// 000000005C98: D3F300A4 1E92DDA6
	v_mfma_f32_16x16x32_fp8_fp8 v[196:199], a[168:169], a[104:105], v[196:199]// 000000005CA0: D3F300C4 1F12D1A8
	v_mfma_f32_16x16x32_fp8_fp8 v[196:199], a[170:171], a[106:107], v[196:199]// 000000005CA8: D3F300C4 1F12D5AA
	v_mfma_f32_16x16x32_fp8_fp8 v[196:199], a[172:173], a[108:109], v[196:199]// 000000005CB0: D3F300C4 1F12D9AC
	v_mfma_f32_16x16x32_fp8_fp8 v[196:199], a[174:175], a[110:111], v[196:199]// 000000005CB8: D3F300C4 1F12DDAE
	v_mfma_f32_16x16x32_fp8_fp8 v[168:171], a[160:161], a[112:113], v[168:171]// 000000005CC0: D3F300A8 1EA2E1A0
	v_mfma_f32_16x16x32_fp8_fp8 v[168:171], a[162:163], a[114:115], v[168:171]// 000000005CC8: D3F300A8 1EA2E5A2
	v_mfma_f32_16x16x32_fp8_fp8 v[168:171], a[164:165], a[116:117], v[168:171]// 000000005CD0: D3F300A8 1EA2E9A4
	v_mfma_f32_16x16x32_fp8_fp8 v[168:171], a[166:167], a[118:119], v[168:171]// 000000005CD8: D3F300A8 1EA2EDA6
	v_mfma_f32_16x16x32_fp8_fp8 v[200:203], a[168:169], a[112:113], v[200:203]// 000000005CE0: D3F300C8 1F22E1A8
	v_mfma_f32_16x16x32_fp8_fp8 v[200:203], a[170:171], a[114:115], v[200:203]// 000000005CE8: D3F300C8 1F22E5AA
	v_mfma_f32_16x16x32_fp8_fp8 v[200:203], a[172:173], a[116:117], v[200:203]// 000000005CF0: D3F300C8 1F22E9AC
	v_mfma_f32_16x16x32_fp8_fp8 v[200:203], a[174:175], a[118:119], v[200:203]// 000000005CF8: D3F300C8 1F22EDAE
	v_mfma_f32_16x16x32_fp8_fp8 v[172:175], a[160:161], a[120:121], v[172:175]// 000000005D00: D3F300AC 1EB2F1A0
	s_add_u32 s60, 0x180, s80                                  // 000000005D08: 803C50FF 00000180
	s_cmp_lt_u32 s60, s81                                      // 000000005D10: BF0A513C
	s_cselect_b32 s57, s57, 0                                  // 000000005D14: 85398039
	v_mfma_f32_16x16x32_fp8_fp8 v[172:175], a[162:163], a[122:123], v[172:175]// 000000005D18: D3F300AC 1EB2F5A2
	s_add_u32 s60, 0x100, s80                                  // 000000005D20: 803C50FF 00000100
	s_cmp_lt_u32 s60, s81                                      // 000000005D28: BF0A513C
	s_cselect_b32 s58, s58, 0                                  // 000000005D2C: 853A803A
	v_mfma_f32_16x16x32_fp8_fp8 v[172:175], a[164:165], a[124:125], v[172:175]// 000000005D30: D3F300AC 1EB2F9A4
	s_add_u32 s60, 0x100, s80                                  // 000000005D38: 803C50FF 00000100
	s_cmp_lt_u32 s60, s81                                      // 000000005D40: BF0A513C
	s_cselect_b32 s83, s83, 0                                  // 000000005D44: 85538053
	v_mfma_f32_16x16x32_fp8_fp8 v[172:175], a[166:167], a[126:127], v[172:175]// 000000005D48: D3F300AC 1EB2FDA6
	s_add_u32 s24, s58, s24                                    // 000000005D50: 8018183A
	s_addc_u32 s25, 0, s25                                     // 000000005D54: 82191980
	v_mfma_f32_16x16x32_fp8_fp8 v[204:207], a[168:169], a[120:121], v[204:207]// 000000005D58: D3F300CC 1F32F1A8
	s_add_u32 s20, s57, s20                                    // 000000005D60: 80141439
	s_addc_u32 s21, 0, s21                                     // 000000005D64: 82151580
	v_mfma_f32_16x16x32_fp8_fp8 v[204:207], a[170:171], a[122:123], v[204:207]// 000000005D68: D3F300CC 1F32F5AA
	s_add_u32 s84, s83, s84                                    // 000000005D70: 80545453
	s_addc_u32 s85, 0, s85                                     // 000000005D74: 82555580
	v_mfma_f32_16x16x32_fp8_fp8 v[204:207], a[172:173], a[124:125], v[204:207]// 000000005D78: D3F300CC 1F32F9AC
	v_mfma_f32_16x16x32_fp8_fp8 v[204:207], a[174:175], a[126:127], v[204:207]// 000000005D80: D3F300CC 1F32FDAE
	s_addk_i32 s80, 0x80                                       // 000000005D88: B7500080
	s_cmp_lt_i32 s80, s81                                      // 000000005D8C: BF045150
	s_cbranch_scc0 label_0CE6                                  // 000000005D90: BF840001
	s_branch label_03BB                                        // 000000005D94: BF82F6D5

0000000000005d98 <label_0CE6>:
	v_mul_f32_dpp v80, v24, v80 row_newbcast:0 row_mask:0xf bank_mask:0xf// 000000005D98: 0AA0A0FA FF015018
	v_mul_f32_dpp v81, v24, v81 row_newbcast:1 row_mask:0xf bank_mask:0xf// 000000005DA0: 0AA2A2FA FF015118
	v_mul_f32_dpp v82, v24, v82 row_newbcast:2 row_mask:0xf bank_mask:0xf// 000000005DA8: 0AA4A4FA FF015218
	v_mul_f32_dpp v83, v24, v83 row_newbcast:3 row_mask:0xf bank_mask:0xf// 000000005DB0: 0AA6A6FA FF015318
	v_mul_f32_dpp v84, v24, v84 row_newbcast:0 row_mask:0xf bank_mask:0xf// 000000005DB8: 0AA8A8FA FF015018
	v_mul_f32_dpp v85, v24, v85 row_newbcast:1 row_mask:0xf bank_mask:0xf// 000000005DC0: 0AAAAAFA FF015118
	v_mul_f32_dpp v86, v24, v86 row_newbcast:2 row_mask:0xf bank_mask:0xf// 000000005DC8: 0AACACFA FF015218
	v_mul_f32_dpp v87, v24, v87 row_newbcast:3 row_mask:0xf bank_mask:0xf// 000000005DD0: 0AAEAEFA FF015318
	v_mul_f32_dpp v88, v24, v88 row_newbcast:0 row_mask:0xf bank_mask:0xf// 000000005DD8: 0AB0B0FA FF015018
	v_mul_f32_dpp v89, v24, v89 row_newbcast:1 row_mask:0xf bank_mask:0xf// 000000005DE0: 0AB2B2FA FF015118
	v_mul_f32_dpp v90, v24, v90 row_newbcast:2 row_mask:0xf bank_mask:0xf// 000000005DE8: 0AB4B4FA FF015218
	v_mul_f32_dpp v91, v24, v91 row_newbcast:3 row_mask:0xf bank_mask:0xf// 000000005DF0: 0AB6B6FA FF015318
	v_mul_f32_dpp v92, v24, v92 row_newbcast:0 row_mask:0xf bank_mask:0xf// 000000005DF8: 0AB8B8FA FF015018
	v_mul_f32_dpp v93, v24, v93 row_newbcast:1 row_mask:0xf bank_mask:0xf// 000000005E00: 0ABABAFA FF015118
	v_mul_f32_dpp v94, v24, v94 row_newbcast:2 row_mask:0xf bank_mask:0xf// 000000005E08: 0ABCBCFA FF015218
	v_mul_f32_dpp v95, v24, v95 row_newbcast:3 row_mask:0xf bank_mask:0xf// 000000005E10: 0ABEBEFA FF015318
	v_mul_f32_dpp v96, v24, v96 row_newbcast:0 row_mask:0xf bank_mask:0xf// 000000005E18: 0AC0C0FA FF015018
	v_mul_f32_dpp v97, v24, v97 row_newbcast:1 row_mask:0xf bank_mask:0xf// 000000005E20: 0AC2C2FA FF015118
	v_mul_f32_dpp v98, v24, v98 row_newbcast:2 row_mask:0xf bank_mask:0xf// 000000005E28: 0AC4C4FA FF015218
	v_mul_f32_dpp v99, v24, v99 row_newbcast:3 row_mask:0xf bank_mask:0xf// 000000005E30: 0AC6C6FA FF015318
	v_mul_f32_dpp v100, v24, v100 row_newbcast:0 row_mask:0xf bank_mask:0xf// 000000005E38: 0AC8C8FA FF015018
	v_mul_f32_dpp v101, v24, v101 row_newbcast:1 row_mask:0xf bank_mask:0xf// 000000005E40: 0ACACAFA FF015118
	v_mul_f32_dpp v102, v24, v102 row_newbcast:2 row_mask:0xf bank_mask:0xf// 000000005E48: 0ACCCCFA FF015218
	v_mul_f32_dpp v103, v24, v103 row_newbcast:3 row_mask:0xf bank_mask:0xf// 000000005E50: 0ACECEFA FF015318
	v_mul_f32_dpp v104, v24, v104 row_newbcast:0 row_mask:0xf bank_mask:0xf// 000000005E58: 0AD0D0FA FF015018
	v_mul_f32_dpp v105, v24, v105 row_newbcast:1 row_mask:0xf bank_mask:0xf// 000000005E60: 0AD2D2FA FF015118
	v_mul_f32_dpp v106, v24, v106 row_newbcast:2 row_mask:0xf bank_mask:0xf// 000000005E68: 0AD4D4FA FF015218
	v_mul_f32_dpp v107, v24, v107 row_newbcast:3 row_mask:0xf bank_mask:0xf// 000000005E70: 0AD6D6FA FF015318
	v_mul_f32_dpp v108, v24, v108 row_newbcast:0 row_mask:0xf bank_mask:0xf// 000000005E78: 0AD8D8FA FF015018
	v_mul_f32_dpp v109, v24, v109 row_newbcast:1 row_mask:0xf bank_mask:0xf// 000000005E80: 0ADADAFA FF015118
	v_mul_f32_dpp v110, v24, v110 row_newbcast:2 row_mask:0xf bank_mask:0xf// 000000005E88: 0ADCDCFA FF015218
	v_mul_f32_dpp v111, v24, v111 row_newbcast:3 row_mask:0xf bank_mask:0xf// 000000005E90: 0ADEDEFA FF015318
	v_mul_f32_dpp v112, v24, v112 row_newbcast:4 row_mask:0xf bank_mask:0xf// 000000005E98: 0AE0E0FA FF015418
	v_mul_f32_dpp v113, v24, v113 row_newbcast:5 row_mask:0xf bank_mask:0xf// 000000005EA0: 0AE2E2FA FF015518
	v_mul_f32_dpp v114, v24, v114 row_newbcast:6 row_mask:0xf bank_mask:0xf// 000000005EA8: 0AE4E4FA FF015618
	v_mul_f32_dpp v115, v24, v115 row_newbcast:7 row_mask:0xf bank_mask:0xf// 000000005EB0: 0AE6E6FA FF015718
	v_mul_f32_dpp v116, v24, v116 row_newbcast:4 row_mask:0xf bank_mask:0xf// 000000005EB8: 0AE8E8FA FF015418
	v_mul_f32_dpp v117, v24, v117 row_newbcast:5 row_mask:0xf bank_mask:0xf// 000000005EC0: 0AEAEAFA FF015518
	v_mul_f32_dpp v118, v24, v118 row_newbcast:6 row_mask:0xf bank_mask:0xf// 000000005EC8: 0AECECFA FF015618
	v_mul_f32_dpp v119, v24, v119 row_newbcast:7 row_mask:0xf bank_mask:0xf// 000000005ED0: 0AEEEEFA FF015718
	v_mul_f32_dpp v120, v24, v120 row_newbcast:4 row_mask:0xf bank_mask:0xf// 000000005ED8: 0AF0F0FA FF015418
	v_mul_f32_dpp v121, v24, v121 row_newbcast:5 row_mask:0xf bank_mask:0xf// 000000005EE0: 0AF2F2FA FF015518
	v_mul_f32_dpp v122, v24, v122 row_newbcast:6 row_mask:0xf bank_mask:0xf// 000000005EE8: 0AF4F4FA FF015618
	v_mul_f32_dpp v123, v24, v123 row_newbcast:7 row_mask:0xf bank_mask:0xf// 000000005EF0: 0AF6F6FA FF015718
	v_mul_f32_dpp v124, v24, v124 row_newbcast:4 row_mask:0xf bank_mask:0xf// 000000005EF8: 0AF8F8FA FF015418
	v_mul_f32_dpp v125, v24, v125 row_newbcast:5 row_mask:0xf bank_mask:0xf// 000000005F00: 0AFAFAFA FF015518
	v_mul_f32_dpp v126, v24, v126 row_newbcast:6 row_mask:0xf bank_mask:0xf// 000000005F08: 0AFCFCFA FF015618
	v_mul_f32_dpp v127, v24, v127 row_newbcast:7 row_mask:0xf bank_mask:0xf// 000000005F10: 0AFEFEFA FF015718
	v_mul_f32_dpp v128, v24, v128 row_newbcast:4 row_mask:0xf bank_mask:0xf// 000000005F18: 0B0100FA FF015418
	v_mul_f32_dpp v129, v24, v129 row_newbcast:5 row_mask:0xf bank_mask:0xf// 000000005F20: 0B0302FA FF015518
	v_mul_f32_dpp v130, v24, v130 row_newbcast:6 row_mask:0xf bank_mask:0xf// 000000005F28: 0B0504FA FF015618
	v_mul_f32_dpp v131, v24, v131 row_newbcast:7 row_mask:0xf bank_mask:0xf// 000000005F30: 0B0706FA FF015718
	v_mul_f32_dpp v132, v24, v132 row_newbcast:4 row_mask:0xf bank_mask:0xf// 000000005F38: 0B0908FA FF015418
	v_mul_f32_dpp v133, v24, v133 row_newbcast:5 row_mask:0xf bank_mask:0xf// 000000005F40: 0B0B0AFA FF015518
	v_mul_f32_dpp v134, v24, v134 row_newbcast:6 row_mask:0xf bank_mask:0xf// 000000005F48: 0B0D0CFA FF015618
	v_mul_f32_dpp v135, v24, v135 row_newbcast:7 row_mask:0xf bank_mask:0xf// 000000005F50: 0B0F0EFA FF015718
	v_mul_f32_dpp v136, v24, v136 row_newbcast:4 row_mask:0xf bank_mask:0xf// 000000005F58: 0B1110FA FF015418
	v_mul_f32_dpp v137, v24, v137 row_newbcast:5 row_mask:0xf bank_mask:0xf// 000000005F60: 0B1312FA FF015518
	v_mul_f32_dpp v138, v24, v138 row_newbcast:6 row_mask:0xf bank_mask:0xf// 000000005F68: 0B1514FA FF015618
	v_mul_f32_dpp v139, v24, v139 row_newbcast:7 row_mask:0xf bank_mask:0xf// 000000005F70: 0B1716FA FF015718
	v_mul_f32_dpp v140, v24, v140 row_newbcast:4 row_mask:0xf bank_mask:0xf// 000000005F78: 0B1918FA FF015418
	v_mul_f32_dpp v141, v24, v141 row_newbcast:5 row_mask:0xf bank_mask:0xf// 000000005F80: 0B1B1AFA FF015518
	v_mul_f32_dpp v142, v24, v142 row_newbcast:6 row_mask:0xf bank_mask:0xf// 000000005F88: 0B1D1CFA FF015618
	v_mul_f32_dpp v143, v24, v143 row_newbcast:7 row_mask:0xf bank_mask:0xf// 000000005F90: 0B1F1EFA FF015718
	v_mul_f32_dpp v144, v27, v144 row_newbcast:0 row_mask:0xf bank_mask:0xf// 000000005F98: 0B2120FA FF01501B
	v_mul_f32_dpp v145, v27, v145 row_newbcast:1 row_mask:0xf bank_mask:0xf// 000000005FA0: 0B2322FA FF01511B
	v_mul_f32_dpp v146, v27, v146 row_newbcast:2 row_mask:0xf bank_mask:0xf// 000000005FA8: 0B2524FA FF01521B
	v_mul_f32_dpp v147, v27, v147 row_newbcast:3 row_mask:0xf bank_mask:0xf// 000000005FB0: 0B2726FA FF01531B
	v_mul_f32_dpp v148, v27, v148 row_newbcast:0 row_mask:0xf bank_mask:0xf// 000000005FB8: 0B2928FA FF01501B
	v_mul_f32_dpp v149, v27, v149 row_newbcast:1 row_mask:0xf bank_mask:0xf// 000000005FC0: 0B2B2AFA FF01511B
	v_mul_f32_dpp v150, v27, v150 row_newbcast:2 row_mask:0xf bank_mask:0xf// 000000005FC8: 0B2D2CFA FF01521B
	v_mul_f32_dpp v151, v27, v151 row_newbcast:3 row_mask:0xf bank_mask:0xf// 000000005FD0: 0B2F2EFA FF01531B
	v_mul_f32_dpp v152, v27, v152 row_newbcast:0 row_mask:0xf bank_mask:0xf// 000000005FD8: 0B3130FA FF01501B
	v_mul_f32_dpp v153, v27, v153 row_newbcast:1 row_mask:0xf bank_mask:0xf// 000000005FE0: 0B3332FA FF01511B
	v_mul_f32_dpp v154, v27, v154 row_newbcast:2 row_mask:0xf bank_mask:0xf// 000000005FE8: 0B3534FA FF01521B
	v_mul_f32_dpp v155, v27, v155 row_newbcast:3 row_mask:0xf bank_mask:0xf// 000000005FF0: 0B3736FA FF01531B
	v_mul_f32_dpp v156, v27, v156 row_newbcast:0 row_mask:0xf bank_mask:0xf// 000000005FF8: 0B3938FA FF01501B
	v_mul_f32_dpp v157, v27, v157 row_newbcast:1 row_mask:0xf bank_mask:0xf// 000000006000: 0B3B3AFA FF01511B
	v_mul_f32_dpp v158, v27, v158 row_newbcast:2 row_mask:0xf bank_mask:0xf// 000000006008: 0B3D3CFA FF01521B
	v_mul_f32_dpp v159, v27, v159 row_newbcast:3 row_mask:0xf bank_mask:0xf// 000000006010: 0B3F3EFA FF01531B
	v_mul_f32_dpp v160, v27, v160 row_newbcast:0 row_mask:0xf bank_mask:0xf// 000000006018: 0B4140FA FF01501B
	v_mul_f32_dpp v161, v27, v161 row_newbcast:1 row_mask:0xf bank_mask:0xf// 000000006020: 0B4342FA FF01511B
	v_mul_f32_dpp v162, v27, v162 row_newbcast:2 row_mask:0xf bank_mask:0xf// 000000006028: 0B4544FA FF01521B
	v_mul_f32_dpp v163, v27, v163 row_newbcast:3 row_mask:0xf bank_mask:0xf// 000000006030: 0B4746FA FF01531B
	v_mul_f32_dpp v164, v27, v164 row_newbcast:0 row_mask:0xf bank_mask:0xf// 000000006038: 0B4948FA FF01501B
	v_mul_f32_dpp v165, v27, v165 row_newbcast:1 row_mask:0xf bank_mask:0xf// 000000006040: 0B4B4AFA FF01511B
	v_mul_f32_dpp v166, v27, v166 row_newbcast:2 row_mask:0xf bank_mask:0xf// 000000006048: 0B4D4CFA FF01521B
	v_mul_f32_dpp v167, v27, v167 row_newbcast:3 row_mask:0xf bank_mask:0xf// 000000006050: 0B4F4EFA FF01531B
	v_mul_f32_dpp v168, v27, v168 row_newbcast:0 row_mask:0xf bank_mask:0xf// 000000006058: 0B5150FA FF01501B
	v_mul_f32_dpp v169, v27, v169 row_newbcast:1 row_mask:0xf bank_mask:0xf// 000000006060: 0B5352FA FF01511B
	v_mul_f32_dpp v170, v27, v170 row_newbcast:2 row_mask:0xf bank_mask:0xf// 000000006068: 0B5554FA FF01521B
	v_mul_f32_dpp v171, v27, v171 row_newbcast:3 row_mask:0xf bank_mask:0xf// 000000006070: 0B5756FA FF01531B
	v_mul_f32_dpp v172, v27, v172 row_newbcast:0 row_mask:0xf bank_mask:0xf// 000000006078: 0B5958FA FF01501B
	v_mul_f32_dpp v173, v27, v173 row_newbcast:1 row_mask:0xf bank_mask:0xf// 000000006080: 0B5B5AFA FF01511B
	v_mul_f32_dpp v174, v27, v174 row_newbcast:2 row_mask:0xf bank_mask:0xf// 000000006088: 0B5D5CFA FF01521B
	v_mul_f32_dpp v175, v27, v175 row_newbcast:3 row_mask:0xf bank_mask:0xf// 000000006090: 0B5F5EFA FF01531B
	v_mul_f32_dpp v176, v27, v176 row_newbcast:4 row_mask:0xf bank_mask:0xf// 000000006098: 0B6160FA FF01541B
	v_mul_f32_dpp v177, v27, v177 row_newbcast:5 row_mask:0xf bank_mask:0xf// 0000000060A0: 0B6362FA FF01551B
	v_mul_f32_dpp v178, v27, v178 row_newbcast:6 row_mask:0xf bank_mask:0xf// 0000000060A8: 0B6564FA FF01561B
	v_mul_f32_dpp v179, v27, v179 row_newbcast:7 row_mask:0xf bank_mask:0xf// 0000000060B0: 0B6766FA FF01571B
	v_mul_f32_dpp v180, v27, v180 row_newbcast:4 row_mask:0xf bank_mask:0xf// 0000000060B8: 0B6968FA FF01541B
	v_mul_f32_dpp v181, v27, v181 row_newbcast:5 row_mask:0xf bank_mask:0xf// 0000000060C0: 0B6B6AFA FF01551B
	v_mul_f32_dpp v182, v27, v182 row_newbcast:6 row_mask:0xf bank_mask:0xf// 0000000060C8: 0B6D6CFA FF01561B
	v_mul_f32_dpp v183, v27, v183 row_newbcast:7 row_mask:0xf bank_mask:0xf// 0000000060D0: 0B6F6EFA FF01571B
	v_mul_f32_dpp v184, v27, v184 row_newbcast:4 row_mask:0xf bank_mask:0xf// 0000000060D8: 0B7170FA FF01541B
	v_mul_f32_dpp v185, v27, v185 row_newbcast:5 row_mask:0xf bank_mask:0xf// 0000000060E0: 0B7372FA FF01551B
	v_mul_f32_dpp v186, v27, v186 row_newbcast:6 row_mask:0xf bank_mask:0xf// 0000000060E8: 0B7574FA FF01561B
	v_mul_f32_dpp v187, v27, v187 row_newbcast:7 row_mask:0xf bank_mask:0xf// 0000000060F0: 0B7776FA FF01571B
	v_mul_f32_dpp v188, v27, v188 row_newbcast:4 row_mask:0xf bank_mask:0xf// 0000000060F8: 0B7978FA FF01541B
	v_mul_f32_dpp v189, v27, v189 row_newbcast:5 row_mask:0xf bank_mask:0xf// 000000006100: 0B7B7AFA FF01551B
	v_mul_f32_dpp v190, v27, v190 row_newbcast:6 row_mask:0xf bank_mask:0xf// 000000006108: 0B7D7CFA FF01561B
	v_mul_f32_dpp v191, v27, v191 row_newbcast:7 row_mask:0xf bank_mask:0xf// 000000006110: 0B7F7EFA FF01571B
	v_mul_f32_dpp v192, v27, v192 row_newbcast:4 row_mask:0xf bank_mask:0xf// 000000006118: 0B8180FA FF01541B
	v_mul_f32_dpp v193, v27, v193 row_newbcast:5 row_mask:0xf bank_mask:0xf// 000000006120: 0B8382FA FF01551B
	v_mul_f32_dpp v194, v27, v194 row_newbcast:6 row_mask:0xf bank_mask:0xf// 000000006128: 0B8584FA FF01561B
	v_mul_f32_dpp v195, v27, v195 row_newbcast:7 row_mask:0xf bank_mask:0xf// 000000006130: 0B8786FA FF01571B
	v_mul_f32_dpp v196, v27, v196 row_newbcast:4 row_mask:0xf bank_mask:0xf// 000000006138: 0B8988FA FF01541B
	v_mul_f32_dpp v197, v27, v197 row_newbcast:5 row_mask:0xf bank_mask:0xf// 000000006140: 0B8B8AFA FF01551B
	v_mul_f32_dpp v198, v27, v198 row_newbcast:6 row_mask:0xf bank_mask:0xf// 000000006148: 0B8D8CFA FF01561B
	v_mul_f32_dpp v199, v27, v199 row_newbcast:7 row_mask:0xf bank_mask:0xf// 000000006150: 0B8F8EFA FF01571B
	v_mul_f32_dpp v200, v27, v200 row_newbcast:4 row_mask:0xf bank_mask:0xf// 000000006158: 0B9190FA FF01541B
	v_mul_f32_dpp v201, v27, v201 row_newbcast:5 row_mask:0xf bank_mask:0xf// 000000006160: 0B9392FA FF01551B
	v_mul_f32_dpp v202, v27, v202 row_newbcast:6 row_mask:0xf bank_mask:0xf// 000000006168: 0B9594FA FF01561B
	v_mul_f32_dpp v203, v27, v203 row_newbcast:7 row_mask:0xf bank_mask:0xf// 000000006170: 0B9796FA FF01571B
	v_mul_f32_dpp v204, v27, v204 row_newbcast:4 row_mask:0xf bank_mask:0xf// 000000006178: 0B9998FA FF01541B
	v_mul_f32_dpp v205, v27, v205 row_newbcast:5 row_mask:0xf bank_mask:0xf// 000000006180: 0B9B9AFA FF01551B
	v_mul_f32_dpp v206, v27, v206 row_newbcast:6 row_mask:0xf bank_mask:0xf// 000000006188: 0B9D9CFA FF01561B
	v_mul_f32_dpp v207, v27, v207 row_newbcast:7 row_mask:0xf bank_mask:0xf// 000000006190: 0B9F9EFA FF01571B
	v_mul_f32_e32 v38, v38, v208                               // 000000006198: 0A4DA126
	v_mov_b32_e32 v4, v38                                      // 00000000619C: 7E080326
	v_mov_b32_e32 v5, v4                                       // 0000000061A0: 7E0A0304
	v_pk_mul_f32 v[80:81], v[4:5], v[80:81]                    // 0000000061A4: D3B14050 1802A104
	v_pk_mul_f32 v[144:145], v[4:5], v[144:145]                // 0000000061AC: D3B14090 18032104
	v_pk_mul_f32 v[82:83], v[4:5], v[82:83]                    // 0000000061B4: D3B14052 1802A504
	v_pk_mul_f32 v[146:147], v[4:5], v[146:147]                // 0000000061BC: D3B14092 18032504
	v_pk_mul_f32 v[112:113], v[4:5], v[112:113]                // 0000000061C4: D3B14070 1802E104
	v_pk_mul_f32 v[176:177], v[4:5], v[176:177]                // 0000000061CC: D3B140B0 18036104
	v_pk_mul_f32 v[114:115], v[4:5], v[114:115]                // 0000000061D4: D3B14072 1802E504
	v_pk_mul_f32 v[178:179], v[4:5], v[178:179]                // 0000000061DC: D3B140B2 18036504
	v_mul_f32_e32 v39, v39, v209                               // 0000000061E4: 0A4FA327
	v_mov_b32_e32 v4, v39                                      // 0000000061E8: 7E080327
	v_mov_b32_e32 v5, v4                                       // 0000000061EC: 7E0A0304
	v_pk_mul_f32 v[84:85], v[4:5], v[84:85]                    // 0000000061F0: D3B14054 1802A904
	v_pk_mul_f32 v[148:149], v[4:5], v[148:149]                // 0000000061F8: D3B14094 18032904
	v_pk_mul_f32 v[86:87], v[4:5], v[86:87]                    // 000000006200: D3B14056 1802AD04
	v_pk_mul_f32 v[150:151], v[4:5], v[150:151]                // 000000006208: D3B14096 18032D04
	v_pk_mul_f32 v[116:117], v[4:5], v[116:117]                // 000000006210: D3B14074 1802E904
	v_pk_mul_f32 v[180:181], v[4:5], v[180:181]                // 000000006218: D3B140B4 18036904
	v_pk_mul_f32 v[118:119], v[4:5], v[118:119]                // 000000006220: D3B14076 1802ED04
	v_pk_mul_f32 v[182:183], v[4:5], v[182:183]                // 000000006228: D3B140B6 18036D04
	v_mul_f32_e32 v40, v40, v210                               // 000000006230: 0A51A528
	v_mov_b32_e32 v4, v40                                      // 000000006234: 7E080328
	v_mov_b32_e32 v5, v4                                       // 000000006238: 7E0A0304
	v_pk_mul_f32 v[88:89], v[4:5], v[88:89]                    // 00000000623C: D3B14058 1802B104
	v_pk_mul_f32 v[152:153], v[4:5], v[152:153]                // 000000006244: D3B14098 18033104
	v_pk_mul_f32 v[90:91], v[4:5], v[90:91]                    // 00000000624C: D3B1405A 1802B504
	v_pk_mul_f32 v[154:155], v[4:5], v[154:155]                // 000000006254: D3B1409A 18033504
	v_pk_mul_f32 v[120:121], v[4:5], v[120:121]                // 00000000625C: D3B14078 1802F104
	v_pk_mul_f32 v[184:185], v[4:5], v[184:185]                // 000000006264: D3B140B8 18037104
	v_pk_mul_f32 v[122:123], v[4:5], v[122:123]                // 00000000626C: D3B1407A 1802F504
	v_pk_mul_f32 v[186:187], v[4:5], v[186:187]                // 000000006274: D3B140BA 18037504
	v_mul_f32_e32 v41, v41, v211                               // 00000000627C: 0A53A729
	v_mov_b32_e32 v4, v41                                      // 000000006280: 7E080329
	v_mov_b32_e32 v5, v4                                       // 000000006284: 7E0A0304
	v_pk_mul_f32 v[92:93], v[4:5], v[92:93]                    // 000000006288: D3B1405C 1802B904
	v_pk_mul_f32 v[156:157], v[4:5], v[156:157]                // 000000006290: D3B1409C 18033904
	v_pk_mul_f32 v[94:95], v[4:5], v[94:95]                    // 000000006298: D3B1405E 1802BD04
	v_pk_mul_f32 v[158:159], v[4:5], v[158:159]                // 0000000062A0: D3B1409E 18033D04
	v_pk_mul_f32 v[124:125], v[4:5], v[124:125]                // 0000000062A8: D3B1407C 1802F904
	v_pk_mul_f32 v[188:189], v[4:5], v[188:189]                // 0000000062B0: D3B140BC 18037904
	v_pk_mul_f32 v[126:127], v[4:5], v[126:127]                // 0000000062B8: D3B1407E 1802FD04
	v_pk_mul_f32 v[190:191], v[4:5], v[190:191]                // 0000000062C0: D3B140BE 18037D04
	v_mul_f32_e32 v42, v42, v212                               // 0000000062C8: 0A55A92A
	v_mov_b32_e32 v4, v42                                      // 0000000062CC: 7E08032A
	v_mov_b32_e32 v5, v4                                       // 0000000062D0: 7E0A0304
	v_pk_mul_f32 v[96:97], v[4:5], v[96:97]                    // 0000000062D4: D3B14060 1802C104
	v_pk_mul_f32 v[160:161], v[4:5], v[160:161]                // 0000000062DC: D3B140A0 18034104
	v_pk_mul_f32 v[98:99], v[4:5], v[98:99]                    // 0000000062E4: D3B14062 1802C504
	v_pk_mul_f32 v[162:163], v[4:5], v[162:163]                // 0000000062EC: D3B140A2 18034504
	v_pk_mul_f32 v[128:129], v[4:5], v[128:129]                // 0000000062F4: D3B14080 18030104
	v_pk_mul_f32 v[192:193], v[4:5], v[192:193]                // 0000000062FC: D3B140C0 18038104
	v_pk_mul_f32 v[130:131], v[4:5], v[130:131]                // 000000006304: D3B14082 18030504
	v_pk_mul_f32 v[194:195], v[4:5], v[194:195]                // 00000000630C: D3B140C2 18038504
	v_mul_f32_e32 v43, v43, v213                               // 000000006314: 0A57AB2B
	v_mov_b32_e32 v4, v43                                      // 000000006318: 7E08032B
	v_mov_b32_e32 v5, v4                                       // 00000000631C: 7E0A0304
	v_pk_mul_f32 v[100:101], v[4:5], v[100:101]                // 000000006320: D3B14064 1802C904
	v_pk_mul_f32 v[164:165], v[4:5], v[164:165]                // 000000006328: D3B140A4 18034904
	v_pk_mul_f32 v[102:103], v[4:5], v[102:103]                // 000000006330: D3B14066 1802CD04
	v_pk_mul_f32 v[166:167], v[4:5], v[166:167]                // 000000006338: D3B140A6 18034D04
	v_pk_mul_f32 v[132:133], v[4:5], v[132:133]                // 000000006340: D3B14084 18030904
	v_pk_mul_f32 v[196:197], v[4:5], v[196:197]                // 000000006348: D3B140C4 18038904
	v_pk_mul_f32 v[134:135], v[4:5], v[134:135]                // 000000006350: D3B14086 18030D04
	v_pk_mul_f32 v[198:199], v[4:5], v[198:199]                // 000000006358: D3B140C6 18038D04
	v_mul_f32_e32 v44, v44, v214                               // 000000006360: 0A59AD2C
	v_mov_b32_e32 v4, v44                                      // 000000006364: 7E08032C
	v_mov_b32_e32 v5, v4                                       // 000000006368: 7E0A0304
	v_pk_mul_f32 v[104:105], v[4:5], v[104:105]                // 00000000636C: D3B14068 1802D104
	v_pk_mul_f32 v[168:169], v[4:5], v[168:169]                // 000000006374: D3B140A8 18035104
	v_pk_mul_f32 v[106:107], v[4:5], v[106:107]                // 00000000637C: D3B1406A 1802D504
	v_pk_mul_f32 v[170:171], v[4:5], v[170:171]                // 000000006384: D3B140AA 18035504
	v_pk_mul_f32 v[136:137], v[4:5], v[136:137]                // 00000000638C: D3B14088 18031104
	v_pk_mul_f32 v[200:201], v[4:5], v[200:201]                // 000000006394: D3B140C8 18039104
	v_pk_mul_f32 v[138:139], v[4:5], v[138:139]                // 00000000639C: D3B1408A 18031504
	v_pk_mul_f32 v[202:203], v[4:5], v[202:203]                // 0000000063A4: D3B140CA 18039504
	v_mul_f32_e32 v45, v45, v215                               // 0000000063AC: 0A5BAF2D
	v_mov_b32_e32 v4, v45                                      // 0000000063B0: 7E08032D
	v_mov_b32_e32 v5, v4                                       // 0000000063B4: 7E0A0304
	v_pk_mul_f32 v[108:109], v[4:5], v[108:109]                // 0000000063B8: D3B1406C 1802D904
	v_pk_mul_f32 v[172:173], v[4:5], v[172:173]                // 0000000063C0: D3B140AC 18035904
	v_pk_mul_f32 v[110:111], v[4:5], v[110:111]                // 0000000063C8: D3B1406E 1802DD04
	v_pk_mul_f32 v[174:175], v[4:5], v[174:175]                // 0000000063D0: D3B140AE 18035D04
	v_pk_mul_f32 v[140:141], v[4:5], v[140:141]                // 0000000063D8: D3B1408C 18031904
	v_pk_mul_f32 v[204:205], v[4:5], v[204:205]                // 0000000063E0: D3B140CC 18039904
	v_pk_mul_f32 v[142:143], v[4:5], v[142:143]                // 0000000063E8: D3B1408E 18031D04
	v_pk_mul_f32 v[206:207], v[4:5], v[206:207]                // 0000000063F0: D3B140CE 18039D04
	s_cmp_eq_u32 s88, 0                                        // 0000000063F8: BF068058
	s_cbranch_scc0 label_17E1                                  // 0000000063FC: BF840961
	s_cmp_eq_u32 s89, 0                                        // 000000006400: BF068059
	s_cbranch_scc1 label_1107                                  // 000000006404: BF850285
	v_mov_b32_e32 v8, v1                                       // 000000006408: 7E100301
	v_mov_b32_e32 v9, v1                                       // 00000000640C: 7E120301
	s_mov_b32 s60, s6                                          // 000000006410: BEBC0006
	s_mov_b32 s61, s6                                          // 000000006414: BEBD0006
	v_pk_mul_f32 v[4:5], v[80:81], v[80:81]                    // 000000006418: D3B14004 1802A150
	v_pk_mul_f32 v[6:7], v[82:83], v[82:83]                    // 000000006420: D3B14006 1802A552
	v_pk_fma_f32 v[4:5], v[4:5], s[78:79], v[8:9]              // 000000006428: D3B04004 1C209D04
	v_pk_fma_f32 v[6:7], v[6:7], s[78:79], v[8:9]              // 000000006430: D3B04006 1C209D06
	v_pk_mul_f32 v[4:5], v[4:5], v[80:81]                      // 000000006438: D3B14004 1802A104
	v_pk_mul_f32 v[6:7], v[6:7], v[82:83]                      // 000000006440: D3B14006 1802A506
	v_pk_mul_f32 v[4:5], v[4:5], s[60:61]                      // 000000006448: D3B14004 18007904
	v_pk_mul_f32 v[6:7], v[6:7], s[60:61]                      // 000000006450: D3B14006 18007906
	v_exp_f32_e32 v4, v4                                       // 000000006458: 7E084104
	v_exp_f32_e32 v5, v5                                       // 00000000645C: 7E0A4105
	v_exp_f32_e32 v6, v6                                       // 000000006460: 7E0C4106
	v_exp_f32_e32 v7, v7                                       // 000000006464: 7E0E4107
	v_add_f32_e64 v4, v4, 1.0                                  // 000000006468: D1010004 0001E504
	v_add_f32_e64 v5, v5, 1.0                                  // 000000006470: D1010005 0001E505
	v_add_f32_e64 v6, v6, 1.0                                  // 000000006478: D1010006 0001E506
	v_add_f32_e64 v7, v7, 1.0                                  // 000000006480: D1010007 0001E507
	v_rcp_f32_e32 v4, v4                                       // 000000006488: 7E084504
	v_rcp_f32_e32 v5, v5                                       // 00000000648C: 7E0A4505
	v_rcp_f32_e32 v6, v6                                       // 000000006490: 7E0C4506
	v_rcp_f32_e32 v7, v7                                       // 000000006494: 7E0E4507
	v_mul_f32_e32 v80, v80, v4                                 // 000000006498: 0AA00950
	v_mul_f32_e32 v81, v81, v5                                 // 00000000649C: 0AA20B51
	v_mul_f32_e32 v82, v82, v6                                 // 0000000064A0: 0AA40D52
	v_mul_f32_e32 v83, v83, v7                                 // 0000000064A4: 0AA60F53
	v_mul_f32_e32 v80, v80, v144                               // 0000000064A8: 0AA12150
	v_mul_f32_e32 v81, v81, v145                               // 0000000064AC: 0AA32351
	v_mul_f32_e32 v82, v82, v146                               // 0000000064B0: 0AA52552
	v_mul_f32_e32 v83, v83, v147                               // 0000000064B4: 0AA72753
	v_pk_mul_f32 v[4:5], v[84:85], v[84:85]                    // 0000000064B8: D3B14004 1802A954
	v_pk_mul_f32 v[6:7], v[86:87], v[86:87]                    // 0000000064C0: D3B14006 1802AD56
	v_pk_fma_f32 v[4:5], v[4:5], s[78:79], v[8:9]              // 0000000064C8: D3B04004 1C209D04
	v_pk_fma_f32 v[6:7], v[6:7], s[78:79], v[8:9]              // 0000000064D0: D3B04006 1C209D06
	v_pk_mul_f32 v[4:5], v[4:5], v[84:85]                      // 0000000064D8: D3B14004 1802A904
	v_pk_mul_f32 v[6:7], v[6:7], v[86:87]                      // 0000000064E0: D3B14006 1802AD06
	v_pk_mul_f32 v[4:5], v[4:5], s[60:61]                      // 0000000064E8: D3B14004 18007904
	v_pk_mul_f32 v[6:7], v[6:7], s[60:61]                      // 0000000064F0: D3B14006 18007906
	v_exp_f32_e32 v4, v4                                       // 0000000064F8: 7E084104
	v_exp_f32_e32 v5, v5                                       // 0000000064FC: 7E0A4105
	v_exp_f32_e32 v6, v6                                       // 000000006500: 7E0C4106
	v_exp_f32_e32 v7, v7                                       // 000000006504: 7E0E4107
	v_add_f32_e64 v4, v4, 1.0                                  // 000000006508: D1010004 0001E504
	v_add_f32_e64 v5, v5, 1.0                                  // 000000006510: D1010005 0001E505
	v_add_f32_e64 v6, v6, 1.0                                  // 000000006518: D1010006 0001E506
	v_add_f32_e64 v7, v7, 1.0                                  // 000000006520: D1010007 0001E507
	v_rcp_f32_e32 v4, v4                                       // 000000006528: 7E084504
	v_rcp_f32_e32 v5, v5                                       // 00000000652C: 7E0A4505
	v_rcp_f32_e32 v6, v6                                       // 000000006530: 7E0C4506
	v_rcp_f32_e32 v7, v7                                       // 000000006534: 7E0E4507
	v_mul_f32_e32 v84, v84, v4                                 // 000000006538: 0AA80954
	v_mul_f32_e32 v85, v85, v5                                 // 00000000653C: 0AAA0B55
	v_mul_f32_e32 v86, v86, v6                                 // 000000006540: 0AAC0D56
	v_mul_f32_e32 v87, v87, v7                                 // 000000006544: 0AAE0F57
	v_mul_f32_e32 v84, v84, v148                               // 000000006548: 0AA92954
	v_mul_f32_e32 v85, v85, v149                               // 00000000654C: 0AAB2B55
	v_mul_f32_e32 v86, v86, v150                               // 000000006550: 0AAD2D56
	v_mul_f32_e32 v87, v87, v151                               // 000000006554: 0AAF2F57
	v_pk_mul_f32 v[4:5], v[88:89], v[88:89]                    // 000000006558: D3B14004 1802B158
	v_pk_mul_f32 v[6:7], v[90:91], v[90:91]                    // 000000006560: D3B14006 1802B55A
	v_pk_fma_f32 v[4:5], v[4:5], s[78:79], v[8:9]              // 000000006568: D3B04004 1C209D04
	v_pk_fma_f32 v[6:7], v[6:7], s[78:79], v[8:9]              // 000000006570: D3B04006 1C209D06
	v_pk_mul_f32 v[4:5], v[4:5], v[88:89]                      // 000000006578: D3B14004 1802B104
	v_pk_mul_f32 v[6:7], v[6:7], v[90:91]                      // 000000006580: D3B14006 1802B506
	v_pk_mul_f32 v[4:5], v[4:5], s[60:61]                      // 000000006588: D3B14004 18007904
	v_pk_mul_f32 v[6:7], v[6:7], s[60:61]                      // 000000006590: D3B14006 18007906
	v_exp_f32_e32 v4, v4                                       // 000000006598: 7E084104
	v_exp_f32_e32 v5, v5                                       // 00000000659C: 7E0A4105
	v_exp_f32_e32 v6, v6                                       // 0000000065A0: 7E0C4106
	v_exp_f32_e32 v7, v7                                       // 0000000065A4: 7E0E4107
	v_add_f32_e64 v4, v4, 1.0                                  // 0000000065A8: D1010004 0001E504
	v_add_f32_e64 v5, v5, 1.0                                  // 0000000065B0: D1010005 0001E505
	v_add_f32_e64 v6, v6, 1.0                                  // 0000000065B8: D1010006 0001E506
	v_add_f32_e64 v7, v7, 1.0                                  // 0000000065C0: D1010007 0001E507
	v_rcp_f32_e32 v4, v4                                       // 0000000065C8: 7E084504
	v_rcp_f32_e32 v5, v5                                       // 0000000065CC: 7E0A4505
	v_rcp_f32_e32 v6, v6                                       // 0000000065D0: 7E0C4506
	v_rcp_f32_e32 v7, v7                                       // 0000000065D4: 7E0E4507
	v_mul_f32_e32 v88, v88, v4                                 // 0000000065D8: 0AB00958
	v_mul_f32_e32 v89, v89, v5                                 // 0000000065DC: 0AB20B59
	v_mul_f32_e32 v90, v90, v6                                 // 0000000065E0: 0AB40D5A
	v_mul_f32_e32 v91, v91, v7                                 // 0000000065E4: 0AB60F5B
	v_mul_f32_e32 v88, v88, v152                               // 0000000065E8: 0AB13158
	v_mul_f32_e32 v89, v89, v153                               // 0000000065EC: 0AB33359
	v_mul_f32_e32 v90, v90, v154                               // 0000000065F0: 0AB5355A
	v_mul_f32_e32 v91, v91, v155                               // 0000000065F4: 0AB7375B
	v_pk_mul_f32 v[4:5], v[92:93], v[92:93]                    // 0000000065F8: D3B14004 1802B95C
	v_pk_mul_f32 v[6:7], v[94:95], v[94:95]                    // 000000006600: D3B14006 1802BD5E
	v_pk_fma_f32 v[4:5], v[4:5], s[78:79], v[8:9]              // 000000006608: D3B04004 1C209D04
	v_pk_fma_f32 v[6:7], v[6:7], s[78:79], v[8:9]              // 000000006610: D3B04006 1C209D06
	v_pk_mul_f32 v[4:5], v[4:5], v[92:93]                      // 000000006618: D3B14004 1802B904
	v_pk_mul_f32 v[6:7], v[6:7], v[94:95]                      // 000000006620: D3B14006 1802BD06
	v_pk_mul_f32 v[4:5], v[4:5], s[60:61]                      // 000000006628: D3B14004 18007904
	v_pk_mul_f32 v[6:7], v[6:7], s[60:61]                      // 000000006630: D3B14006 18007906
	v_exp_f32_e32 v4, v4                                       // 000000006638: 7E084104
	v_exp_f32_e32 v5, v5                                       // 00000000663C: 7E0A4105
	v_exp_f32_e32 v6, v6                                       // 000000006640: 7E0C4106
	v_exp_f32_e32 v7, v7                                       // 000000006644: 7E0E4107
	v_add_f32_e64 v4, v4, 1.0                                  // 000000006648: D1010004 0001E504
	v_add_f32_e64 v5, v5, 1.0                                  // 000000006650: D1010005 0001E505
	v_add_f32_e64 v6, v6, 1.0                                  // 000000006658: D1010006 0001E506
	v_add_f32_e64 v7, v7, 1.0                                  // 000000006660: D1010007 0001E507
	v_rcp_f32_e32 v4, v4                                       // 000000006668: 7E084504
	v_rcp_f32_e32 v5, v5                                       // 00000000666C: 7E0A4505
	v_rcp_f32_e32 v6, v6                                       // 000000006670: 7E0C4506
	v_rcp_f32_e32 v7, v7                                       // 000000006674: 7E0E4507
	v_mul_f32_e32 v92, v92, v4                                 // 000000006678: 0AB8095C
	v_mul_f32_e32 v93, v93, v5                                 // 00000000667C: 0ABA0B5D
	v_mul_f32_e32 v94, v94, v6                                 // 000000006680: 0ABC0D5E
	v_mul_f32_e32 v95, v95, v7                                 // 000000006684: 0ABE0F5F
	v_mul_f32_e32 v92, v92, v156                               // 000000006688: 0AB9395C
	v_mul_f32_e32 v93, v93, v157                               // 00000000668C: 0ABB3B5D
	v_mul_f32_e32 v94, v94, v158                               // 000000006690: 0ABD3D5E
	v_mul_f32_e32 v95, v95, v159                               // 000000006694: 0ABF3F5F
	v_pk_mul_f32 v[4:5], v[96:97], v[96:97]                    // 000000006698: D3B14004 1802C160
	v_pk_mul_f32 v[6:7], v[98:99], v[98:99]                    // 0000000066A0: D3B14006 1802C562
	v_pk_fma_f32 v[4:5], v[4:5], s[78:79], v[8:9]              // 0000000066A8: D3B04004 1C209D04
	v_pk_fma_f32 v[6:7], v[6:7], s[78:79], v[8:9]              // 0000000066B0: D3B04006 1C209D06
	v_pk_mul_f32 v[4:5], v[4:5], v[96:97]                      // 0000000066B8: D3B14004 1802C104
	v_pk_mul_f32 v[6:7], v[6:7], v[98:99]                      // 0000000066C0: D3B14006 1802C506
	v_pk_mul_f32 v[4:5], v[4:5], s[60:61]                      // 0000000066C8: D3B14004 18007904
	v_pk_mul_f32 v[6:7], v[6:7], s[60:61]                      // 0000000066D0: D3B14006 18007906
	v_exp_f32_e32 v4, v4                                       // 0000000066D8: 7E084104
	v_exp_f32_e32 v5, v5                                       // 0000000066DC: 7E0A4105
	v_exp_f32_e32 v6, v6                                       // 0000000066E0: 7E0C4106
	v_exp_f32_e32 v7, v7                                       // 0000000066E4: 7E0E4107
	v_add_f32_e64 v4, v4, 1.0                                  // 0000000066E8: D1010004 0001E504
	v_add_f32_e64 v5, v5, 1.0                                  // 0000000066F0: D1010005 0001E505
	v_add_f32_e64 v6, v6, 1.0                                  // 0000000066F8: D1010006 0001E506
	v_add_f32_e64 v7, v7, 1.0                                  // 000000006700: D1010007 0001E507
	v_rcp_f32_e32 v4, v4                                       // 000000006708: 7E084504
	v_rcp_f32_e32 v5, v5                                       // 00000000670C: 7E0A4505
	v_rcp_f32_e32 v6, v6                                       // 000000006710: 7E0C4506
	v_rcp_f32_e32 v7, v7                                       // 000000006714: 7E0E4507
	v_mul_f32_e32 v96, v96, v4                                 // 000000006718: 0AC00960
	v_mul_f32_e32 v97, v97, v5                                 // 00000000671C: 0AC20B61
	v_mul_f32_e32 v98, v98, v6                                 // 000000006720: 0AC40D62
	v_mul_f32_e32 v99, v99, v7                                 // 000000006724: 0AC60F63
	v_mul_f32_e32 v96, v96, v160                               // 000000006728: 0AC14160
	v_mul_f32_e32 v97, v97, v161                               // 00000000672C: 0AC34361
	v_mul_f32_e32 v98, v98, v162                               // 000000006730: 0AC54562
	v_mul_f32_e32 v99, v99, v163                               // 000000006734: 0AC74763
	v_pk_mul_f32 v[4:5], v[100:101], v[100:101]                // 000000006738: D3B14004 1802C964
	v_pk_mul_f32 v[6:7], v[102:103], v[102:103]                // 000000006740: D3B14006 1802CD66
	v_pk_fma_f32 v[4:5], v[4:5], s[78:79], v[8:9]              // 000000006748: D3B04004 1C209D04
	v_pk_fma_f32 v[6:7], v[6:7], s[78:79], v[8:9]              // 000000006750: D3B04006 1C209D06
	v_pk_mul_f32 v[4:5], v[4:5], v[100:101]                    // 000000006758: D3B14004 1802C904
	v_pk_mul_f32 v[6:7], v[6:7], v[102:103]                    // 000000006760: D3B14006 1802CD06
	v_pk_mul_f32 v[4:5], v[4:5], s[60:61]                      // 000000006768: D3B14004 18007904
	v_pk_mul_f32 v[6:7], v[6:7], s[60:61]                      // 000000006770: D3B14006 18007906
	v_exp_f32_e32 v4, v4                                       // 000000006778: 7E084104
	v_exp_f32_e32 v5, v5                                       // 00000000677C: 7E0A4105
	v_exp_f32_e32 v6, v6                                       // 000000006780: 7E0C4106
	v_exp_f32_e32 v7, v7                                       // 000000006784: 7E0E4107
	v_add_f32_e64 v4, v4, 1.0                                  // 000000006788: D1010004 0001E504
	v_add_f32_e64 v5, v5, 1.0                                  // 000000006790: D1010005 0001E505
	v_add_f32_e64 v6, v6, 1.0                                  // 000000006798: D1010006 0001E506
	v_add_f32_e64 v7, v7, 1.0                                  // 0000000067A0: D1010007 0001E507
	v_rcp_f32_e32 v4, v4                                       // 0000000067A8: 7E084504
	v_rcp_f32_e32 v5, v5                                       // 0000000067AC: 7E0A4505
	v_rcp_f32_e32 v6, v6                                       // 0000000067B0: 7E0C4506
	v_rcp_f32_e32 v7, v7                                       // 0000000067B4: 7E0E4507
	v_mul_f32_e32 v100, v100, v4                               // 0000000067B8: 0AC80964
	v_mul_f32_e32 v101, v101, v5                               // 0000000067BC: 0ACA0B65
	v_mul_f32_e32 v102, v102, v6                               // 0000000067C0: 0ACC0D66
	v_mul_f32_e32 v103, v103, v7                               // 0000000067C4: 0ACE0F67
	v_mul_f32_e32 v100, v100, v164                             // 0000000067C8: 0AC94964
	v_mul_f32_e32 v101, v101, v165                             // 0000000067CC: 0ACB4B65
	v_mul_f32_e32 v102, v102, v166                             // 0000000067D0: 0ACD4D66
	v_mul_f32_e32 v103, v103, v167                             // 0000000067D4: 0ACF4F67
	v_pk_mul_f32 v[4:5], v[104:105], v[104:105]                // 0000000067D8: D3B14004 1802D168
	v_pk_mul_f32 v[6:7], v[106:107], v[106:107]                // 0000000067E0: D3B14006 1802D56A
	v_pk_fma_f32 v[4:5], v[4:5], s[78:79], v[8:9]              // 0000000067E8: D3B04004 1C209D04
	v_pk_fma_f32 v[6:7], v[6:7], s[78:79], v[8:9]              // 0000000067F0: D3B04006 1C209D06
	v_pk_mul_f32 v[4:5], v[4:5], v[104:105]                    // 0000000067F8: D3B14004 1802D104
	v_pk_mul_f32 v[6:7], v[6:7], v[106:107]                    // 000000006800: D3B14006 1802D506
	v_pk_mul_f32 v[4:5], v[4:5], s[60:61]                      // 000000006808: D3B14004 18007904
	v_pk_mul_f32 v[6:7], v[6:7], s[60:61]                      // 000000006810: D3B14006 18007906
	v_exp_f32_e32 v4, v4                                       // 000000006818: 7E084104
	v_exp_f32_e32 v5, v5                                       // 00000000681C: 7E0A4105
	v_exp_f32_e32 v6, v6                                       // 000000006820: 7E0C4106
	v_exp_f32_e32 v7, v7                                       // 000000006824: 7E0E4107
	v_add_f32_e64 v4, v4, 1.0                                  // 000000006828: D1010004 0001E504
	v_add_f32_e64 v5, v5, 1.0                                  // 000000006830: D1010005 0001E505
	v_add_f32_e64 v6, v6, 1.0                                  // 000000006838: D1010006 0001E506
	v_add_f32_e64 v7, v7, 1.0                                  // 000000006840: D1010007 0001E507
	v_rcp_f32_e32 v4, v4                                       // 000000006848: 7E084504
	v_rcp_f32_e32 v5, v5                                       // 00000000684C: 7E0A4505
	v_rcp_f32_e32 v6, v6                                       // 000000006850: 7E0C4506
	v_rcp_f32_e32 v7, v7                                       // 000000006854: 7E0E4507
	v_mul_f32_e32 v104, v104, v4                               // 000000006858: 0AD00968
	v_mul_f32_e32 v105, v105, v5                               // 00000000685C: 0AD20B69
	v_mul_f32_e32 v106, v106, v6                               // 000000006860: 0AD40D6A
	v_mul_f32_e32 v107, v107, v7                               // 000000006864: 0AD60F6B
	v_mul_f32_e32 v104, v104, v168                             // 000000006868: 0AD15168
	v_mul_f32_e32 v105, v105, v169                             // 00000000686C: 0AD35369
	v_mul_f32_e32 v106, v106, v170                             // 000000006870: 0AD5556A
	v_mul_f32_e32 v107, v107, v171                             // 000000006874: 0AD7576B
	v_pk_mul_f32 v[4:5], v[108:109], v[108:109]                // 000000006878: D3B14004 1802D96C
	v_pk_mul_f32 v[6:7], v[110:111], v[110:111]                // 000000006880: D3B14006 1802DD6E
	v_pk_fma_f32 v[4:5], v[4:5], s[78:79], v[8:9]              // 000000006888: D3B04004 1C209D04
	v_pk_fma_f32 v[6:7], v[6:7], s[78:79], v[8:9]              // 000000006890: D3B04006 1C209D06
	v_pk_mul_f32 v[4:5], v[4:5], v[108:109]                    // 000000006898: D3B14004 1802D904
	v_pk_mul_f32 v[6:7], v[6:7], v[110:111]                    // 0000000068A0: D3B14006 1802DD06
	v_pk_mul_f32 v[4:5], v[4:5], s[60:61]                      // 0000000068A8: D3B14004 18007904
	v_pk_mul_f32 v[6:7], v[6:7], s[60:61]                      // 0000000068B0: D3B14006 18007906
	v_exp_f32_e32 v4, v4                                       // 0000000068B8: 7E084104
	v_exp_f32_e32 v5, v5                                       // 0000000068BC: 7E0A4105
	v_exp_f32_e32 v6, v6                                       // 0000000068C0: 7E0C4106
	v_exp_f32_e32 v7, v7                                       // 0000000068C4: 7E0E4107
	v_add_f32_e64 v4, v4, 1.0                                  // 0000000068C8: D1010004 0001E504
	v_add_f32_e64 v5, v5, 1.0                                  // 0000000068D0: D1010005 0001E505
	v_add_f32_e64 v6, v6, 1.0                                  // 0000000068D8: D1010006 0001E506
	v_add_f32_e64 v7, v7, 1.0                                  // 0000000068E0: D1010007 0001E507
	v_rcp_f32_e32 v4, v4                                       // 0000000068E8: 7E084504
	v_rcp_f32_e32 v5, v5                                       // 0000000068EC: 7E0A4505
	v_rcp_f32_e32 v6, v6                                       // 0000000068F0: 7E0C4506
	v_rcp_f32_e32 v7, v7                                       // 0000000068F4: 7E0E4507
	v_mul_f32_e32 v108, v108, v4                               // 0000000068F8: 0AD8096C
	v_mul_f32_e32 v109, v109, v5                               // 0000000068FC: 0ADA0B6D
	v_mul_f32_e32 v110, v110, v6                               // 000000006900: 0ADC0D6E
	v_mul_f32_e32 v111, v111, v7                               // 000000006904: 0ADE0F6F
	v_mul_f32_e32 v108, v108, v172                             // 000000006908: 0AD9596C
	v_mul_f32_e32 v109, v109, v173                             // 00000000690C: 0ADB5B6D
	v_mul_f32_e32 v110, v110, v174                             // 000000006910: 0ADD5D6E
	v_mul_f32_e32 v111, v111, v175                             // 000000006914: 0ADF5F6F
	v_pk_mul_f32 v[4:5], v[112:113], v[112:113]                // 000000006918: D3B14004 1802E170
	v_pk_mul_f32 v[6:7], v[114:115], v[114:115]                // 000000006920: D3B14006 1802E572
	v_pk_fma_f32 v[4:5], v[4:5], s[78:79], v[8:9]              // 000000006928: D3B04004 1C209D04
	v_pk_fma_f32 v[6:7], v[6:7], s[78:79], v[8:9]              // 000000006930: D3B04006 1C209D06
	v_pk_mul_f32 v[4:5], v[4:5], v[112:113]                    // 000000006938: D3B14004 1802E104
	v_pk_mul_f32 v[6:7], v[6:7], v[114:115]                    // 000000006940: D3B14006 1802E506
	v_pk_mul_f32 v[4:5], v[4:5], s[60:61]                      // 000000006948: D3B14004 18007904
	v_pk_mul_f32 v[6:7], v[6:7], s[60:61]                      // 000000006950: D3B14006 18007906
	v_exp_f32_e32 v4, v4                                       // 000000006958: 7E084104
	v_exp_f32_e32 v5, v5                                       // 00000000695C: 7E0A4105
	v_exp_f32_e32 v6, v6                                       // 000000006960: 7E0C4106
	v_exp_f32_e32 v7, v7                                       // 000000006964: 7E0E4107
	v_add_f32_e64 v4, v4, 1.0                                  // 000000006968: D1010004 0001E504
	v_add_f32_e64 v5, v5, 1.0                                  // 000000006970: D1010005 0001E505
	v_add_f32_e64 v6, v6, 1.0                                  // 000000006978: D1010006 0001E506
	v_add_f32_e64 v7, v7, 1.0                                  // 000000006980: D1010007 0001E507
	v_rcp_f32_e32 v4, v4                                       // 000000006988: 7E084504
	v_rcp_f32_e32 v5, v5                                       // 00000000698C: 7E0A4505
	v_rcp_f32_e32 v6, v6                                       // 000000006990: 7E0C4506
	v_rcp_f32_e32 v7, v7                                       // 000000006994: 7E0E4507
	v_mul_f32_e32 v112, v112, v4                               // 000000006998: 0AE00970
	v_mul_f32_e32 v113, v113, v5                               // 00000000699C: 0AE20B71
	v_mul_f32_e32 v114, v114, v6                               // 0000000069A0: 0AE40D72
	v_mul_f32_e32 v115, v115, v7                               // 0000000069A4: 0AE60F73
	v_mul_f32_e32 v112, v112, v176                             // 0000000069A8: 0AE16170
	v_mul_f32_e32 v113, v113, v177                             // 0000000069AC: 0AE36371
	v_mul_f32_e32 v114, v114, v178                             // 0000000069B0: 0AE56572
	v_mul_f32_e32 v115, v115, v179                             // 0000000069B4: 0AE76773
	v_pk_mul_f32 v[4:5], v[116:117], v[116:117]                // 0000000069B8: D3B14004 1802E974
	v_pk_mul_f32 v[6:7], v[118:119], v[118:119]                // 0000000069C0: D3B14006 1802ED76
	v_pk_fma_f32 v[4:5], v[4:5], s[78:79], v[8:9]              // 0000000069C8: D3B04004 1C209D04
	v_pk_fma_f32 v[6:7], v[6:7], s[78:79], v[8:9]              // 0000000069D0: D3B04006 1C209D06
	v_pk_mul_f32 v[4:5], v[4:5], v[116:117]                    // 0000000069D8: D3B14004 1802E904
	v_pk_mul_f32 v[6:7], v[6:7], v[118:119]                    // 0000000069E0: D3B14006 1802ED06
	v_pk_mul_f32 v[4:5], v[4:5], s[60:61]                      // 0000000069E8: D3B14004 18007904
	v_pk_mul_f32 v[6:7], v[6:7], s[60:61]                      // 0000000069F0: D3B14006 18007906
	v_exp_f32_e32 v4, v4                                       // 0000000069F8: 7E084104
	v_exp_f32_e32 v5, v5                                       // 0000000069FC: 7E0A4105
	v_exp_f32_e32 v6, v6                                       // 000000006A00: 7E0C4106
	v_exp_f32_e32 v7, v7                                       // 000000006A04: 7E0E4107
	v_add_f32_e64 v4, v4, 1.0                                  // 000000006A08: D1010004 0001E504
	v_add_f32_e64 v5, v5, 1.0                                  // 000000006A10: D1010005 0001E505
	v_add_f32_e64 v6, v6, 1.0                                  // 000000006A18: D1010006 0001E506
	v_add_f32_e64 v7, v7, 1.0                                  // 000000006A20: D1010007 0001E507
	v_rcp_f32_e32 v4, v4                                       // 000000006A28: 7E084504
	v_rcp_f32_e32 v5, v5                                       // 000000006A2C: 7E0A4505
	v_rcp_f32_e32 v6, v6                                       // 000000006A30: 7E0C4506
	v_rcp_f32_e32 v7, v7                                       // 000000006A34: 7E0E4507
	v_mul_f32_e32 v116, v116, v4                               // 000000006A38: 0AE80974
	v_mul_f32_e32 v117, v117, v5                               // 000000006A3C: 0AEA0B75
	v_mul_f32_e32 v118, v118, v6                               // 000000006A40: 0AEC0D76
	v_mul_f32_e32 v119, v119, v7                               // 000000006A44: 0AEE0F77
	v_mul_f32_e32 v116, v116, v180                             // 000000006A48: 0AE96974
	v_mul_f32_e32 v117, v117, v181                             // 000000006A4C: 0AEB6B75
	v_mul_f32_e32 v118, v118, v182                             // 000000006A50: 0AED6D76
	v_mul_f32_e32 v119, v119, v183                             // 000000006A54: 0AEF6F77
	v_pk_mul_f32 v[4:5], v[120:121], v[120:121]                // 000000006A58: D3B14004 1802F178
	v_pk_mul_f32 v[6:7], v[122:123], v[122:123]                // 000000006A60: D3B14006 1802F57A
	v_pk_fma_f32 v[4:5], v[4:5], s[78:79], v[8:9]              // 000000006A68: D3B04004 1C209D04
	v_pk_fma_f32 v[6:7], v[6:7], s[78:79], v[8:9]              // 000000006A70: D3B04006 1C209D06
	v_pk_mul_f32 v[4:5], v[4:5], v[120:121]                    // 000000006A78: D3B14004 1802F104
	v_pk_mul_f32 v[6:7], v[6:7], v[122:123]                    // 000000006A80: D3B14006 1802F506
	v_pk_mul_f32 v[4:5], v[4:5], s[60:61]                      // 000000006A88: D3B14004 18007904
	v_pk_mul_f32 v[6:7], v[6:7], s[60:61]                      // 000000006A90: D3B14006 18007906
	v_exp_f32_e32 v4, v4                                       // 000000006A98: 7E084104
	v_exp_f32_e32 v5, v5                                       // 000000006A9C: 7E0A4105
	v_exp_f32_e32 v6, v6                                       // 000000006AA0: 7E0C4106
	v_exp_f32_e32 v7, v7                                       // 000000006AA4: 7E0E4107
	v_add_f32_e64 v4, v4, 1.0                                  // 000000006AA8: D1010004 0001E504
	v_add_f32_e64 v5, v5, 1.0                                  // 000000006AB0: D1010005 0001E505
	v_add_f32_e64 v6, v6, 1.0                                  // 000000006AB8: D1010006 0001E506
	v_add_f32_e64 v7, v7, 1.0                                  // 000000006AC0: D1010007 0001E507
	v_rcp_f32_e32 v4, v4                                       // 000000006AC8: 7E084504
	v_rcp_f32_e32 v5, v5                                       // 000000006ACC: 7E0A4505
	v_rcp_f32_e32 v6, v6                                       // 000000006AD0: 7E0C4506
	v_rcp_f32_e32 v7, v7                                       // 000000006AD4: 7E0E4507
	v_mul_f32_e32 v120, v120, v4                               // 000000006AD8: 0AF00978
	v_mul_f32_e32 v121, v121, v5                               // 000000006ADC: 0AF20B79
	v_mul_f32_e32 v122, v122, v6                               // 000000006AE0: 0AF40D7A
	v_mul_f32_e32 v123, v123, v7                               // 000000006AE4: 0AF60F7B
	v_mul_f32_e32 v120, v120, v184                             // 000000006AE8: 0AF17178
	v_mul_f32_e32 v121, v121, v185                             // 000000006AEC: 0AF37379
	v_mul_f32_e32 v122, v122, v186                             // 000000006AF0: 0AF5757A
	v_mul_f32_e32 v123, v123, v187                             // 000000006AF4: 0AF7777B
	v_pk_mul_f32 v[4:5], v[124:125], v[124:125]                // 000000006AF8: D3B14004 1802F97C
	v_pk_mul_f32 v[6:7], v[126:127], v[126:127]                // 000000006B00: D3B14006 1802FD7E
	v_pk_fma_f32 v[4:5], v[4:5], s[78:79], v[8:9]              // 000000006B08: D3B04004 1C209D04
	v_pk_fma_f32 v[6:7], v[6:7], s[78:79], v[8:9]              // 000000006B10: D3B04006 1C209D06
	v_pk_mul_f32 v[4:5], v[4:5], v[124:125]                    // 000000006B18: D3B14004 1802F904
	v_pk_mul_f32 v[6:7], v[6:7], v[126:127]                    // 000000006B20: D3B14006 1802FD06
	v_pk_mul_f32 v[4:5], v[4:5], s[60:61]                      // 000000006B28: D3B14004 18007904
	v_pk_mul_f32 v[6:7], v[6:7], s[60:61]                      // 000000006B30: D3B14006 18007906
	v_exp_f32_e32 v4, v4                                       // 000000006B38: 7E084104
	v_exp_f32_e32 v5, v5                                       // 000000006B3C: 7E0A4105
	v_exp_f32_e32 v6, v6                                       // 000000006B40: 7E0C4106
	v_exp_f32_e32 v7, v7                                       // 000000006B44: 7E0E4107
	v_add_f32_e64 v4, v4, 1.0                                  // 000000006B48: D1010004 0001E504
	v_add_f32_e64 v5, v5, 1.0                                  // 000000006B50: D1010005 0001E505
	v_add_f32_e64 v6, v6, 1.0                                  // 000000006B58: D1010006 0001E506
	v_add_f32_e64 v7, v7, 1.0                                  // 000000006B60: D1010007 0001E507
	v_rcp_f32_e32 v4, v4                                       // 000000006B68: 7E084504
	v_rcp_f32_e32 v5, v5                                       // 000000006B6C: 7E0A4505
	v_rcp_f32_e32 v6, v6                                       // 000000006B70: 7E0C4506
	v_rcp_f32_e32 v7, v7                                       // 000000006B74: 7E0E4507
	v_mul_f32_e32 v124, v124, v4                               // 000000006B78: 0AF8097C
	v_mul_f32_e32 v125, v125, v5                               // 000000006B7C: 0AFA0B7D
	v_mul_f32_e32 v126, v126, v6                               // 000000006B80: 0AFC0D7E
	v_mul_f32_e32 v127, v127, v7                               // 000000006B84: 0AFE0F7F
	v_mul_f32_e32 v124, v124, v188                             // 000000006B88: 0AF9797C
	v_mul_f32_e32 v125, v125, v189                             // 000000006B8C: 0AFB7B7D
	v_mul_f32_e32 v126, v126, v190                             // 000000006B90: 0AFD7D7E
	v_mul_f32_e32 v127, v127, v191                             // 000000006B94: 0AFF7F7F
	v_pk_mul_f32 v[4:5], v[128:129], v[128:129]                // 000000006B98: D3B14004 18030180
	v_pk_mul_f32 v[6:7], v[130:131], v[130:131]                // 000000006BA0: D3B14006 18030582
	v_pk_fma_f32 v[4:5], v[4:5], s[78:79], v[8:9]              // 000000006BA8: D3B04004 1C209D04
	v_pk_fma_f32 v[6:7], v[6:7], s[78:79], v[8:9]              // 000000006BB0: D3B04006 1C209D06
	v_pk_mul_f32 v[4:5], v[4:5], v[128:129]                    // 000000006BB8: D3B14004 18030104
	v_pk_mul_f32 v[6:7], v[6:7], v[130:131]                    // 000000006BC0: D3B14006 18030506
	v_pk_mul_f32 v[4:5], v[4:5], s[60:61]                      // 000000006BC8: D3B14004 18007904
	v_pk_mul_f32 v[6:7], v[6:7], s[60:61]                      // 000000006BD0: D3B14006 18007906
	v_exp_f32_e32 v4, v4                                       // 000000006BD8: 7E084104
	v_exp_f32_e32 v5, v5                                       // 000000006BDC: 7E0A4105
	v_exp_f32_e32 v6, v6                                       // 000000006BE0: 7E0C4106
	v_exp_f32_e32 v7, v7                                       // 000000006BE4: 7E0E4107
	v_add_f32_e64 v4, v4, 1.0                                  // 000000006BE8: D1010004 0001E504
	v_add_f32_e64 v5, v5, 1.0                                  // 000000006BF0: D1010005 0001E505
	v_add_f32_e64 v6, v6, 1.0                                  // 000000006BF8: D1010006 0001E506
	v_add_f32_e64 v7, v7, 1.0                                  // 000000006C00: D1010007 0001E507
	v_rcp_f32_e32 v4, v4                                       // 000000006C08: 7E084504
	v_rcp_f32_e32 v5, v5                                       // 000000006C0C: 7E0A4505
	v_rcp_f32_e32 v6, v6                                       // 000000006C10: 7E0C4506
	v_rcp_f32_e32 v7, v7                                       // 000000006C14: 7E0E4507
	v_mul_f32_e32 v128, v128, v4                               // 000000006C18: 0B000980
	v_mul_f32_e32 v129, v129, v5                               // 000000006C1C: 0B020B81
	v_mul_f32_e32 v130, v130, v6                               // 000000006C20: 0B040D82
	v_mul_f32_e32 v131, v131, v7                               // 000000006C24: 0B060F83
	v_mul_f32_e32 v128, v128, v192                             // 000000006C28: 0B018180
	v_mul_f32_e32 v129, v129, v193                             // 000000006C2C: 0B038381
	v_mul_f32_e32 v130, v130, v194                             // 000000006C30: 0B058582
	v_mul_f32_e32 v131, v131, v195                             // 000000006C34: 0B078783
	v_pk_mul_f32 v[4:5], v[132:133], v[132:133]                // 000000006C38: D3B14004 18030984
	v_pk_mul_f32 v[6:7], v[134:135], v[134:135]                // 000000006C40: D3B14006 18030D86
	v_pk_fma_f32 v[4:5], v[4:5], s[78:79], v[8:9]              // 000000006C48: D3B04004 1C209D04
	v_pk_fma_f32 v[6:7], v[6:7], s[78:79], v[8:9]              // 000000006C50: D3B04006 1C209D06
	v_pk_mul_f32 v[4:5], v[4:5], v[132:133]                    // 000000006C58: D3B14004 18030904
	v_pk_mul_f32 v[6:7], v[6:7], v[134:135]                    // 000000006C60: D3B14006 18030D06
	v_pk_mul_f32 v[4:5], v[4:5], s[60:61]                      // 000000006C68: D3B14004 18007904
	v_pk_mul_f32 v[6:7], v[6:7], s[60:61]                      // 000000006C70: D3B14006 18007906
	v_exp_f32_e32 v4, v4                                       // 000000006C78: 7E084104
	v_exp_f32_e32 v5, v5                                       // 000000006C7C: 7E0A4105
	v_exp_f32_e32 v6, v6                                       // 000000006C80: 7E0C4106
	v_exp_f32_e32 v7, v7                                       // 000000006C84: 7E0E4107
	v_add_f32_e64 v4, v4, 1.0                                  // 000000006C88: D1010004 0001E504
	v_add_f32_e64 v5, v5, 1.0                                  // 000000006C90: D1010005 0001E505
	v_add_f32_e64 v6, v6, 1.0                                  // 000000006C98: D1010006 0001E506
	v_add_f32_e64 v7, v7, 1.0                                  // 000000006CA0: D1010007 0001E507
	v_rcp_f32_e32 v4, v4                                       // 000000006CA8: 7E084504
	v_rcp_f32_e32 v5, v5                                       // 000000006CAC: 7E0A4505
	v_rcp_f32_e32 v6, v6                                       // 000000006CB0: 7E0C4506
	v_rcp_f32_e32 v7, v7                                       // 000000006CB4: 7E0E4507
	v_mul_f32_e32 v132, v132, v4                               // 000000006CB8: 0B080984
	v_mul_f32_e32 v133, v133, v5                               // 000000006CBC: 0B0A0B85
	v_mul_f32_e32 v134, v134, v6                               // 000000006CC0: 0B0C0D86
	v_mul_f32_e32 v135, v135, v7                               // 000000006CC4: 0B0E0F87
	v_mul_f32_e32 v132, v132, v196                             // 000000006CC8: 0B098984
	v_mul_f32_e32 v133, v133, v197                             // 000000006CCC: 0B0B8B85
	v_mul_f32_e32 v134, v134, v198                             // 000000006CD0: 0B0D8D86
	v_mul_f32_e32 v135, v135, v199                             // 000000006CD4: 0B0F8F87
	v_pk_mul_f32 v[4:5], v[136:137], v[136:137]                // 000000006CD8: D3B14004 18031188
	v_pk_mul_f32 v[6:7], v[138:139], v[138:139]                // 000000006CE0: D3B14006 1803158A
	v_pk_fma_f32 v[4:5], v[4:5], s[78:79], v[8:9]              // 000000006CE8: D3B04004 1C209D04
	v_pk_fma_f32 v[6:7], v[6:7], s[78:79], v[8:9]              // 000000006CF0: D3B04006 1C209D06
	v_pk_mul_f32 v[4:5], v[4:5], v[136:137]                    // 000000006CF8: D3B14004 18031104
	v_pk_mul_f32 v[6:7], v[6:7], v[138:139]                    // 000000006D00: D3B14006 18031506
	v_pk_mul_f32 v[4:5], v[4:5], s[60:61]                      // 000000006D08: D3B14004 18007904
	v_pk_mul_f32 v[6:7], v[6:7], s[60:61]                      // 000000006D10: D3B14006 18007906
	v_exp_f32_e32 v4, v4                                       // 000000006D18: 7E084104
	v_exp_f32_e32 v5, v5                                       // 000000006D1C: 7E0A4105
	v_exp_f32_e32 v6, v6                                       // 000000006D20: 7E0C4106
	v_exp_f32_e32 v7, v7                                       // 000000006D24: 7E0E4107
	v_add_f32_e64 v4, v4, 1.0                                  // 000000006D28: D1010004 0001E504
	v_add_f32_e64 v5, v5, 1.0                                  // 000000006D30: D1010005 0001E505
	v_add_f32_e64 v6, v6, 1.0                                  // 000000006D38: D1010006 0001E506
	v_add_f32_e64 v7, v7, 1.0                                  // 000000006D40: D1010007 0001E507
	v_rcp_f32_e32 v4, v4                                       // 000000006D48: 7E084504
	v_rcp_f32_e32 v5, v5                                       // 000000006D4C: 7E0A4505
	v_rcp_f32_e32 v6, v6                                       // 000000006D50: 7E0C4506
	v_rcp_f32_e32 v7, v7                                       // 000000006D54: 7E0E4507
	v_mul_f32_e32 v136, v136, v4                               // 000000006D58: 0B100988
	v_mul_f32_e32 v137, v137, v5                               // 000000006D5C: 0B120B89
	v_mul_f32_e32 v138, v138, v6                               // 000000006D60: 0B140D8A
	v_mul_f32_e32 v139, v139, v7                               // 000000006D64: 0B160F8B
	v_mul_f32_e32 v136, v136, v200                             // 000000006D68: 0B119188
	v_mul_f32_e32 v137, v137, v201                             // 000000006D6C: 0B139389
	v_mul_f32_e32 v138, v138, v202                             // 000000006D70: 0B15958A
	v_mul_f32_e32 v139, v139, v203                             // 000000006D74: 0B17978B
	v_pk_mul_f32 v[4:5], v[140:141], v[140:141]                // 000000006D78: D3B14004 1803198C
	v_pk_mul_f32 v[6:7], v[142:143], v[142:143]                // 000000006D80: D3B14006 18031D8E
	v_pk_fma_f32 v[4:5], v[4:5], s[78:79], v[8:9]              // 000000006D88: D3B04004 1C209D04
	v_pk_fma_f32 v[6:7], v[6:7], s[78:79], v[8:9]              // 000000006D90: D3B04006 1C209D06
	v_pk_mul_f32 v[4:5], v[4:5], v[140:141]                    // 000000006D98: D3B14004 18031904
	v_pk_mul_f32 v[6:7], v[6:7], v[142:143]                    // 000000006DA0: D3B14006 18031D06
	v_pk_mul_f32 v[4:5], v[4:5], s[60:61]                      // 000000006DA8: D3B14004 18007904
	v_pk_mul_f32 v[6:7], v[6:7], s[60:61]                      // 000000006DB0: D3B14006 18007906
	v_exp_f32_e32 v4, v4                                       // 000000006DB8: 7E084104
	v_exp_f32_e32 v5, v5                                       // 000000006DBC: 7E0A4105
	v_exp_f32_e32 v6, v6                                       // 000000006DC0: 7E0C4106
	v_exp_f32_e32 v7, v7                                       // 000000006DC4: 7E0E4107
	v_add_f32_e64 v4, v4, 1.0                                  // 000000006DC8: D1010004 0001E504
	v_add_f32_e64 v5, v5, 1.0                                  // 000000006DD0: D1010005 0001E505
	v_add_f32_e64 v6, v6, 1.0                                  // 000000006DD8: D1010006 0001E506
	v_add_f32_e64 v7, v7, 1.0                                  // 000000006DE0: D1010007 0001E507
	v_rcp_f32_e32 v4, v4                                       // 000000006DE8: 7E084504
	v_rcp_f32_e32 v5, v5                                       // 000000006DEC: 7E0A4505
	v_rcp_f32_e32 v6, v6                                       // 000000006DF0: 7E0C4506
	v_rcp_f32_e32 v7, v7                                       // 000000006DF4: 7E0E4507
	v_mul_f32_e32 v140, v140, v4                               // 000000006DF8: 0B18098C
	v_mul_f32_e32 v141, v141, v5                               // 000000006DFC: 0B1A0B8D
	v_mul_f32_e32 v142, v142, v6                               // 000000006E00: 0B1C0D8E
	v_mul_f32_e32 v143, v143, v7                               // 000000006E04: 0B1E0F8F
	v_mul_f32_e32 v140, v140, v204                             // 000000006E08: 0B19998C
	v_mul_f32_e32 v141, v141, v205                             // 000000006E0C: 0B1B9B8D
	v_mul_f32_e32 v142, v142, v206                             // 000000006E10: 0B1D9D8E
	v_mul_f32_e32 v143, v143, v207                             // 000000006E14: 0B1F9F8F
	s_branch label_1307                                        // 000000006E18: BF820200

0000000000006e1c <label_1107>:
	v_mul_f32_e64 v4, -v80, s6                                 // 000000006E1C: D1050004 20000D50
	v_mul_f32_e64 v5, -v81, s6                                 // 000000006E24: D1050005 20000D51
	v_mul_f32_e64 v6, -v82, s6                                 // 000000006E2C: D1050006 20000D52
	v_mul_f32_e64 v7, -v83, s6                                 // 000000006E34: D1050007 20000D53
	v_exp_f32_e32 v4, v4                                       // 000000006E3C: 7E084104
	v_exp_f32_e32 v5, v5                                       // 000000006E40: 7E0A4105
	v_exp_f32_e32 v6, v6                                       // 000000006E44: 7E0C4106
	v_exp_f32_e32 v7, v7                                       // 000000006E48: 7E0E4107
	v_add_f32_e64 v4, v4, 1.0                                  // 000000006E4C: D1010004 0001E504
	v_add_f32_e64 v5, v5, 1.0                                  // 000000006E54: D1010005 0001E505
	v_add_f32_e64 v6, v6, 1.0                                  // 000000006E5C: D1010006 0001E506
	v_add_f32_e64 v7, v7, 1.0                                  // 000000006E64: D1010007 0001E507
	v_rcp_f32_e32 v4, v4                                       // 000000006E6C: 7E084504
	v_rcp_f32_e32 v5, v5                                       // 000000006E70: 7E0A4505
	v_rcp_f32_e32 v6, v6                                       // 000000006E74: 7E0C4506
	v_rcp_f32_e32 v7, v7                                       // 000000006E78: 7E0E4507
	v_mul_f32_e32 v80, v80, v4                                 // 000000006E7C: 0AA00950
	v_mul_f32_e32 v81, v81, v5                                 // 000000006E80: 0AA20B51
	v_mul_f32_e32 v82, v82, v6                                 // 000000006E84: 0AA40D52
	v_mul_f32_e32 v83, v83, v7                                 // 000000006E88: 0AA60F53
	v_mul_f32_e32 v80, v80, v144                               // 000000006E8C: 0AA12150
	v_mul_f32_e32 v81, v81, v145                               // 000000006E90: 0AA32351
	v_mul_f32_e32 v82, v82, v146                               // 000000006E94: 0AA52552
	v_mul_f32_e32 v83, v83, v147                               // 000000006E98: 0AA72753
	v_mul_f32_e64 v4, -v84, s6                                 // 000000006E9C: D1050004 20000D54
	v_mul_f32_e64 v5, -v85, s6                                 // 000000006EA4: D1050005 20000D55
	v_mul_f32_e64 v6, -v86, s6                                 // 000000006EAC: D1050006 20000D56
	v_mul_f32_e64 v7, -v87, s6                                 // 000000006EB4: D1050007 20000D57
	v_exp_f32_e32 v4, v4                                       // 000000006EBC: 7E084104
	v_exp_f32_e32 v5, v5                                       // 000000006EC0: 7E0A4105
	v_exp_f32_e32 v6, v6                                       // 000000006EC4: 7E0C4106
	v_exp_f32_e32 v7, v7                                       // 000000006EC8: 7E0E4107
	v_add_f32_e64 v4, v4, 1.0                                  // 000000006ECC: D1010004 0001E504
	v_add_f32_e64 v5, v5, 1.0                                  // 000000006ED4: D1010005 0001E505
	v_add_f32_e64 v6, v6, 1.0                                  // 000000006EDC: D1010006 0001E506
	v_add_f32_e64 v7, v7, 1.0                                  // 000000006EE4: D1010007 0001E507
	v_rcp_f32_e32 v4, v4                                       // 000000006EEC: 7E084504
	v_rcp_f32_e32 v5, v5                                       // 000000006EF0: 7E0A4505
	v_rcp_f32_e32 v6, v6                                       // 000000006EF4: 7E0C4506
	v_rcp_f32_e32 v7, v7                                       // 000000006EF8: 7E0E4507
	v_mul_f32_e32 v84, v84, v4                                 // 000000006EFC: 0AA80954
	v_mul_f32_e32 v85, v85, v5                                 // 000000006F00: 0AAA0B55
	v_mul_f32_e32 v86, v86, v6                                 // 000000006F04: 0AAC0D56
	v_mul_f32_e32 v87, v87, v7                                 // 000000006F08: 0AAE0F57
	v_mul_f32_e32 v84, v84, v148                               // 000000006F0C: 0AA92954
	v_mul_f32_e32 v85, v85, v149                               // 000000006F10: 0AAB2B55
	v_mul_f32_e32 v86, v86, v150                               // 000000006F14: 0AAD2D56
	v_mul_f32_e32 v87, v87, v151                               // 000000006F18: 0AAF2F57
	v_mul_f32_e64 v4, -v88, s6                                 // 000000006F1C: D1050004 20000D58
	v_mul_f32_e64 v5, -v89, s6                                 // 000000006F24: D1050005 20000D59
	v_mul_f32_e64 v6, -v90, s6                                 // 000000006F2C: D1050006 20000D5A
	v_mul_f32_e64 v7, -v91, s6                                 // 000000006F34: D1050007 20000D5B
	v_exp_f32_e32 v4, v4                                       // 000000006F3C: 7E084104
	v_exp_f32_e32 v5, v5                                       // 000000006F40: 7E0A4105
	v_exp_f32_e32 v6, v6                                       // 000000006F44: 7E0C4106
	v_exp_f32_e32 v7, v7                                       // 000000006F48: 7E0E4107
	v_add_f32_e64 v4, v4, 1.0                                  // 000000006F4C: D1010004 0001E504
	v_add_f32_e64 v5, v5, 1.0                                  // 000000006F54: D1010005 0001E505
	v_add_f32_e64 v6, v6, 1.0                                  // 000000006F5C: D1010006 0001E506
	v_add_f32_e64 v7, v7, 1.0                                  // 000000006F64: D1010007 0001E507
	v_rcp_f32_e32 v4, v4                                       // 000000006F6C: 7E084504
	v_rcp_f32_e32 v5, v5                                       // 000000006F70: 7E0A4505
	v_rcp_f32_e32 v6, v6                                       // 000000006F74: 7E0C4506
	v_rcp_f32_e32 v7, v7                                       // 000000006F78: 7E0E4507
	v_mul_f32_e32 v88, v88, v4                                 // 000000006F7C: 0AB00958
	v_mul_f32_e32 v89, v89, v5                                 // 000000006F80: 0AB20B59
	v_mul_f32_e32 v90, v90, v6                                 // 000000006F84: 0AB40D5A
	v_mul_f32_e32 v91, v91, v7                                 // 000000006F88: 0AB60F5B
	v_mul_f32_e32 v88, v88, v152                               // 000000006F8C: 0AB13158
	v_mul_f32_e32 v89, v89, v153                               // 000000006F90: 0AB33359
	v_mul_f32_e32 v90, v90, v154                               // 000000006F94: 0AB5355A
	v_mul_f32_e32 v91, v91, v155                               // 000000006F98: 0AB7375B
	v_mul_f32_e64 v4, -v92, s6                                 // 000000006F9C: D1050004 20000D5C
	v_mul_f32_e64 v5, -v93, s6                                 // 000000006FA4: D1050005 20000D5D
	v_mul_f32_e64 v6, -v94, s6                                 // 000000006FAC: D1050006 20000D5E
	v_mul_f32_e64 v7, -v95, s6                                 // 000000006FB4: D1050007 20000D5F
	v_exp_f32_e32 v4, v4                                       // 000000006FBC: 7E084104
	v_exp_f32_e32 v5, v5                                       // 000000006FC0: 7E0A4105
	v_exp_f32_e32 v6, v6                                       // 000000006FC4: 7E0C4106
	v_exp_f32_e32 v7, v7                                       // 000000006FC8: 7E0E4107
	v_add_f32_e64 v4, v4, 1.0                                  // 000000006FCC: D1010004 0001E504
	v_add_f32_e64 v5, v5, 1.0                                  // 000000006FD4: D1010005 0001E505
	v_add_f32_e64 v6, v6, 1.0                                  // 000000006FDC: D1010006 0001E506
	v_add_f32_e64 v7, v7, 1.0                                  // 000000006FE4: D1010007 0001E507
	v_rcp_f32_e32 v4, v4                                       // 000000006FEC: 7E084504
	v_rcp_f32_e32 v5, v5                                       // 000000006FF0: 7E0A4505
	v_rcp_f32_e32 v6, v6                                       // 000000006FF4: 7E0C4506
	v_rcp_f32_e32 v7, v7                                       // 000000006FF8: 7E0E4507
	v_mul_f32_e32 v92, v92, v4                                 // 000000006FFC: 0AB8095C
	v_mul_f32_e32 v93, v93, v5                                 // 000000007000: 0ABA0B5D
	v_mul_f32_e32 v94, v94, v6                                 // 000000007004: 0ABC0D5E
	v_mul_f32_e32 v95, v95, v7                                 // 000000007008: 0ABE0F5F
	v_mul_f32_e32 v92, v92, v156                               // 00000000700C: 0AB9395C
	v_mul_f32_e32 v93, v93, v157                               // 000000007010: 0ABB3B5D
	v_mul_f32_e32 v94, v94, v158                               // 000000007014: 0ABD3D5E
	v_mul_f32_e32 v95, v95, v159                               // 000000007018: 0ABF3F5F
	v_mul_f32_e64 v4, -v96, s6                                 // 00000000701C: D1050004 20000D60
	v_mul_f32_e64 v5, -v97, s6                                 // 000000007024: D1050005 20000D61
	v_mul_f32_e64 v6, -v98, s6                                 // 00000000702C: D1050006 20000D62
	v_mul_f32_e64 v7, -v99, s6                                 // 000000007034: D1050007 20000D63
	v_exp_f32_e32 v4, v4                                       // 00000000703C: 7E084104
	v_exp_f32_e32 v5, v5                                       // 000000007040: 7E0A4105
	v_exp_f32_e32 v6, v6                                       // 000000007044: 7E0C4106
	v_exp_f32_e32 v7, v7                                       // 000000007048: 7E0E4107
	v_add_f32_e64 v4, v4, 1.0                                  // 00000000704C: D1010004 0001E504
	v_add_f32_e64 v5, v5, 1.0                                  // 000000007054: D1010005 0001E505
	v_add_f32_e64 v6, v6, 1.0                                  // 00000000705C: D1010006 0001E506
	v_add_f32_e64 v7, v7, 1.0                                  // 000000007064: D1010007 0001E507
	v_rcp_f32_e32 v4, v4                                       // 00000000706C: 7E084504
	v_rcp_f32_e32 v5, v5                                       // 000000007070: 7E0A4505
	v_rcp_f32_e32 v6, v6                                       // 000000007074: 7E0C4506
	v_rcp_f32_e32 v7, v7                                       // 000000007078: 7E0E4507
	v_mul_f32_e32 v96, v96, v4                                 // 00000000707C: 0AC00960
	v_mul_f32_e32 v97, v97, v5                                 // 000000007080: 0AC20B61
	v_mul_f32_e32 v98, v98, v6                                 // 000000007084: 0AC40D62
	v_mul_f32_e32 v99, v99, v7                                 // 000000007088: 0AC60F63
	v_mul_f32_e32 v96, v96, v160                               // 00000000708C: 0AC14160
	v_mul_f32_e32 v97, v97, v161                               // 000000007090: 0AC34361
	v_mul_f32_e32 v98, v98, v162                               // 000000007094: 0AC54562
	v_mul_f32_e32 v99, v99, v163                               // 000000007098: 0AC74763
	v_mul_f32_e64 v4, -v100, s6                                // 00000000709C: D1050004 20000D64
	v_mul_f32_e64 v5, -v101, s6                                // 0000000070A4: D1050005 20000D65
	v_mul_f32_e64 v6, -v102, s6                                // 0000000070AC: D1050006 20000D66
	v_mul_f32_e64 v7, -v103, s6                                // 0000000070B4: D1050007 20000D67
	v_exp_f32_e32 v4, v4                                       // 0000000070BC: 7E084104
	v_exp_f32_e32 v5, v5                                       // 0000000070C0: 7E0A4105
	v_exp_f32_e32 v6, v6                                       // 0000000070C4: 7E0C4106
	v_exp_f32_e32 v7, v7                                       // 0000000070C8: 7E0E4107
	v_add_f32_e64 v4, v4, 1.0                                  // 0000000070CC: D1010004 0001E504
	v_add_f32_e64 v5, v5, 1.0                                  // 0000000070D4: D1010005 0001E505
	v_add_f32_e64 v6, v6, 1.0                                  // 0000000070DC: D1010006 0001E506
	v_add_f32_e64 v7, v7, 1.0                                  // 0000000070E4: D1010007 0001E507
	v_rcp_f32_e32 v4, v4                                       // 0000000070EC: 7E084504
	v_rcp_f32_e32 v5, v5                                       // 0000000070F0: 7E0A4505
	v_rcp_f32_e32 v6, v6                                       // 0000000070F4: 7E0C4506
	v_rcp_f32_e32 v7, v7                                       // 0000000070F8: 7E0E4507
	v_mul_f32_e32 v100, v100, v4                               // 0000000070FC: 0AC80964
	v_mul_f32_e32 v101, v101, v5                               // 000000007100: 0ACA0B65
	v_mul_f32_e32 v102, v102, v6                               // 000000007104: 0ACC0D66
	v_mul_f32_e32 v103, v103, v7                               // 000000007108: 0ACE0F67
	v_mul_f32_e32 v100, v100, v164                             // 00000000710C: 0AC94964
	v_mul_f32_e32 v101, v101, v165                             // 000000007110: 0ACB4B65
	v_mul_f32_e32 v102, v102, v166                             // 000000007114: 0ACD4D66
	v_mul_f32_e32 v103, v103, v167                             // 000000007118: 0ACF4F67
	v_mul_f32_e64 v4, -v104, s6                                // 00000000711C: D1050004 20000D68
	v_mul_f32_e64 v5, -v105, s6                                // 000000007124: D1050005 20000D69
	v_mul_f32_e64 v6, -v106, s6                                // 00000000712C: D1050006 20000D6A
	v_mul_f32_e64 v7, -v107, s6                                // 000000007134: D1050007 20000D6B
	v_exp_f32_e32 v4, v4                                       // 00000000713C: 7E084104
	v_exp_f32_e32 v5, v5                                       // 000000007140: 7E0A4105
	v_exp_f32_e32 v6, v6                                       // 000000007144: 7E0C4106
	v_exp_f32_e32 v7, v7                                       // 000000007148: 7E0E4107
	v_add_f32_e64 v4, v4, 1.0                                  // 00000000714C: D1010004 0001E504
	v_add_f32_e64 v5, v5, 1.0                                  // 000000007154: D1010005 0001E505
	v_add_f32_e64 v6, v6, 1.0                                  // 00000000715C: D1010006 0001E506
	v_add_f32_e64 v7, v7, 1.0                                  // 000000007164: D1010007 0001E507
	v_rcp_f32_e32 v4, v4                                       // 00000000716C: 7E084504
	v_rcp_f32_e32 v5, v5                                       // 000000007170: 7E0A4505
	v_rcp_f32_e32 v6, v6                                       // 000000007174: 7E0C4506
	v_rcp_f32_e32 v7, v7                                       // 000000007178: 7E0E4507
	v_mul_f32_e32 v104, v104, v4                               // 00000000717C: 0AD00968
	v_mul_f32_e32 v105, v105, v5                               // 000000007180: 0AD20B69
	v_mul_f32_e32 v106, v106, v6                               // 000000007184: 0AD40D6A
	v_mul_f32_e32 v107, v107, v7                               // 000000007188: 0AD60F6B
	v_mul_f32_e32 v104, v104, v168                             // 00000000718C: 0AD15168
	v_mul_f32_e32 v105, v105, v169                             // 000000007190: 0AD35369
	v_mul_f32_e32 v106, v106, v170                             // 000000007194: 0AD5556A
	v_mul_f32_e32 v107, v107, v171                             // 000000007198: 0AD7576B
	v_mul_f32_e64 v4, -v108, s6                                // 00000000719C: D1050004 20000D6C
	v_mul_f32_e64 v5, -v109, s6                                // 0000000071A4: D1050005 20000D6D
	v_mul_f32_e64 v6, -v110, s6                                // 0000000071AC: D1050006 20000D6E
	v_mul_f32_e64 v7, -v111, s6                                // 0000000071B4: D1050007 20000D6F
	v_exp_f32_e32 v4, v4                                       // 0000000071BC: 7E084104
	v_exp_f32_e32 v5, v5                                       // 0000000071C0: 7E0A4105
	v_exp_f32_e32 v6, v6                                       // 0000000071C4: 7E0C4106
	v_exp_f32_e32 v7, v7                                       // 0000000071C8: 7E0E4107
	v_add_f32_e64 v4, v4, 1.0                                  // 0000000071CC: D1010004 0001E504
	v_add_f32_e64 v5, v5, 1.0                                  // 0000000071D4: D1010005 0001E505
	v_add_f32_e64 v6, v6, 1.0                                  // 0000000071DC: D1010006 0001E506
	v_add_f32_e64 v7, v7, 1.0                                  // 0000000071E4: D1010007 0001E507
	v_rcp_f32_e32 v4, v4                                       // 0000000071EC: 7E084504
	v_rcp_f32_e32 v5, v5                                       // 0000000071F0: 7E0A4505
	v_rcp_f32_e32 v6, v6                                       // 0000000071F4: 7E0C4506
	v_rcp_f32_e32 v7, v7                                       // 0000000071F8: 7E0E4507
	v_mul_f32_e32 v108, v108, v4                               // 0000000071FC: 0AD8096C
	v_mul_f32_e32 v109, v109, v5                               // 000000007200: 0ADA0B6D
	v_mul_f32_e32 v110, v110, v6                               // 000000007204: 0ADC0D6E
	v_mul_f32_e32 v111, v111, v7                               // 000000007208: 0ADE0F6F
	v_mul_f32_e32 v108, v108, v172                             // 00000000720C: 0AD9596C
	v_mul_f32_e32 v109, v109, v173                             // 000000007210: 0ADB5B6D
	v_mul_f32_e32 v110, v110, v174                             // 000000007214: 0ADD5D6E
	v_mul_f32_e32 v111, v111, v175                             // 000000007218: 0ADF5F6F
	v_mul_f32_e64 v4, -v112, s6                                // 00000000721C: D1050004 20000D70
	v_mul_f32_e64 v5, -v113, s6                                // 000000007224: D1050005 20000D71
	v_mul_f32_e64 v6, -v114, s6                                // 00000000722C: D1050006 20000D72
	v_mul_f32_e64 v7, -v115, s6                                // 000000007234: D1050007 20000D73
	v_exp_f32_e32 v4, v4                                       // 00000000723C: 7E084104
	v_exp_f32_e32 v5, v5                                       // 000000007240: 7E0A4105
	v_exp_f32_e32 v6, v6                                       // 000000007244: 7E0C4106
	v_exp_f32_e32 v7, v7                                       // 000000007248: 7E0E4107
	v_add_f32_e64 v4, v4, 1.0                                  // 00000000724C: D1010004 0001E504
	v_add_f32_e64 v5, v5, 1.0                                  // 000000007254: D1010005 0001E505
	v_add_f32_e64 v6, v6, 1.0                                  // 00000000725C: D1010006 0001E506
	v_add_f32_e64 v7, v7, 1.0                                  // 000000007264: D1010007 0001E507
	v_rcp_f32_e32 v4, v4                                       // 00000000726C: 7E084504
	v_rcp_f32_e32 v5, v5                                       // 000000007270: 7E0A4505
	v_rcp_f32_e32 v6, v6                                       // 000000007274: 7E0C4506
	v_rcp_f32_e32 v7, v7                                       // 000000007278: 7E0E4507
	v_mul_f32_e32 v112, v112, v4                               // 00000000727C: 0AE00970
	v_mul_f32_e32 v113, v113, v5                               // 000000007280: 0AE20B71
	v_mul_f32_e32 v114, v114, v6                               // 000000007284: 0AE40D72
	v_mul_f32_e32 v115, v115, v7                               // 000000007288: 0AE60F73
	v_mul_f32_e32 v112, v112, v176                             // 00000000728C: 0AE16170
	v_mul_f32_e32 v113, v113, v177                             // 000000007290: 0AE36371
	v_mul_f32_e32 v114, v114, v178                             // 000000007294: 0AE56572
	v_mul_f32_e32 v115, v115, v179                             // 000000007298: 0AE76773
	v_mul_f32_e64 v4, -v116, s6                                // 00000000729C: D1050004 20000D74
	v_mul_f32_e64 v5, -v117, s6                                // 0000000072A4: D1050005 20000D75
	v_mul_f32_e64 v6, -v118, s6                                // 0000000072AC: D1050006 20000D76
	v_mul_f32_e64 v7, -v119, s6                                // 0000000072B4: D1050007 20000D77
	v_exp_f32_e32 v4, v4                                       // 0000000072BC: 7E084104
	v_exp_f32_e32 v5, v5                                       // 0000000072C0: 7E0A4105
	v_exp_f32_e32 v6, v6                                       // 0000000072C4: 7E0C4106
	v_exp_f32_e32 v7, v7                                       // 0000000072C8: 7E0E4107
	v_add_f32_e64 v4, v4, 1.0                                  // 0000000072CC: D1010004 0001E504
	v_add_f32_e64 v5, v5, 1.0                                  // 0000000072D4: D1010005 0001E505
	v_add_f32_e64 v6, v6, 1.0                                  // 0000000072DC: D1010006 0001E506
	v_add_f32_e64 v7, v7, 1.0                                  // 0000000072E4: D1010007 0001E507
	v_rcp_f32_e32 v4, v4                                       // 0000000072EC: 7E084504
	v_rcp_f32_e32 v5, v5                                       // 0000000072F0: 7E0A4505
	v_rcp_f32_e32 v6, v6                                       // 0000000072F4: 7E0C4506
	v_rcp_f32_e32 v7, v7                                       // 0000000072F8: 7E0E4507
	v_mul_f32_e32 v116, v116, v4                               // 0000000072FC: 0AE80974
	v_mul_f32_e32 v117, v117, v5                               // 000000007300: 0AEA0B75
	v_mul_f32_e32 v118, v118, v6                               // 000000007304: 0AEC0D76
	v_mul_f32_e32 v119, v119, v7                               // 000000007308: 0AEE0F77
	v_mul_f32_e32 v116, v116, v180                             // 00000000730C: 0AE96974
	v_mul_f32_e32 v117, v117, v181                             // 000000007310: 0AEB6B75
	v_mul_f32_e32 v118, v118, v182                             // 000000007314: 0AED6D76
	v_mul_f32_e32 v119, v119, v183                             // 000000007318: 0AEF6F77
	v_mul_f32_e64 v4, -v120, s6                                // 00000000731C: D1050004 20000D78
	v_mul_f32_e64 v5, -v121, s6                                // 000000007324: D1050005 20000D79
	v_mul_f32_e64 v6, -v122, s6                                // 00000000732C: D1050006 20000D7A
	v_mul_f32_e64 v7, -v123, s6                                // 000000007334: D1050007 20000D7B
	v_exp_f32_e32 v4, v4                                       // 00000000733C: 7E084104
	v_exp_f32_e32 v5, v5                                       // 000000007340: 7E0A4105
	v_exp_f32_e32 v6, v6                                       // 000000007344: 7E0C4106
	v_exp_f32_e32 v7, v7                                       // 000000007348: 7E0E4107
	v_add_f32_e64 v4, v4, 1.0                                  // 00000000734C: D1010004 0001E504
	v_add_f32_e64 v5, v5, 1.0                                  // 000000007354: D1010005 0001E505
	v_add_f32_e64 v6, v6, 1.0                                  // 00000000735C: D1010006 0001E506
	v_add_f32_e64 v7, v7, 1.0                                  // 000000007364: D1010007 0001E507
	v_rcp_f32_e32 v4, v4                                       // 00000000736C: 7E084504
	v_rcp_f32_e32 v5, v5                                       // 000000007370: 7E0A4505
	v_rcp_f32_e32 v6, v6                                       // 000000007374: 7E0C4506
	v_rcp_f32_e32 v7, v7                                       // 000000007378: 7E0E4507
	v_mul_f32_e32 v120, v120, v4                               // 00000000737C: 0AF00978
	v_mul_f32_e32 v121, v121, v5                               // 000000007380: 0AF20B79
	v_mul_f32_e32 v122, v122, v6                               // 000000007384: 0AF40D7A
	v_mul_f32_e32 v123, v123, v7                               // 000000007388: 0AF60F7B
	v_mul_f32_e32 v120, v120, v184                             // 00000000738C: 0AF17178
	v_mul_f32_e32 v121, v121, v185                             // 000000007390: 0AF37379
	v_mul_f32_e32 v122, v122, v186                             // 000000007394: 0AF5757A
	v_mul_f32_e32 v123, v123, v187                             // 000000007398: 0AF7777B
	v_mul_f32_e64 v4, -v124, s6                                // 00000000739C: D1050004 20000D7C
	v_mul_f32_e64 v5, -v125, s6                                // 0000000073A4: D1050005 20000D7D
	v_mul_f32_e64 v6, -v126, s6                                // 0000000073AC: D1050006 20000D7E
	v_mul_f32_e64 v7, -v127, s6                                // 0000000073B4: D1050007 20000D7F
	v_exp_f32_e32 v4, v4                                       // 0000000073BC: 7E084104
	v_exp_f32_e32 v5, v5                                       // 0000000073C0: 7E0A4105
	v_exp_f32_e32 v6, v6                                       // 0000000073C4: 7E0C4106
	v_exp_f32_e32 v7, v7                                       // 0000000073C8: 7E0E4107
	v_add_f32_e64 v4, v4, 1.0                                  // 0000000073CC: D1010004 0001E504
	v_add_f32_e64 v5, v5, 1.0                                  // 0000000073D4: D1010005 0001E505
	v_add_f32_e64 v6, v6, 1.0                                  // 0000000073DC: D1010006 0001E506
	v_add_f32_e64 v7, v7, 1.0                                  // 0000000073E4: D1010007 0001E507
	v_rcp_f32_e32 v4, v4                                       // 0000000073EC: 7E084504
	v_rcp_f32_e32 v5, v5                                       // 0000000073F0: 7E0A4505
	v_rcp_f32_e32 v6, v6                                       // 0000000073F4: 7E0C4506
	v_rcp_f32_e32 v7, v7                                       // 0000000073F8: 7E0E4507
	v_mul_f32_e32 v124, v124, v4                               // 0000000073FC: 0AF8097C
	v_mul_f32_e32 v125, v125, v5                               // 000000007400: 0AFA0B7D
	v_mul_f32_e32 v126, v126, v6                               // 000000007404: 0AFC0D7E
	v_mul_f32_e32 v127, v127, v7                               // 000000007408: 0AFE0F7F
	v_mul_f32_e32 v124, v124, v188                             // 00000000740C: 0AF9797C
	v_mul_f32_e32 v125, v125, v189                             // 000000007410: 0AFB7B7D
	v_mul_f32_e32 v126, v126, v190                             // 000000007414: 0AFD7D7E
	v_mul_f32_e32 v127, v127, v191                             // 000000007418: 0AFF7F7F
	v_mul_f32_e64 v4, -v128, s6                                // 00000000741C: D1050004 20000D80
	v_mul_f32_e64 v5, -v129, s6                                // 000000007424: D1050005 20000D81
	v_mul_f32_e64 v6, -v130, s6                                // 00000000742C: D1050006 20000D82
	v_mul_f32_e64 v7, -v131, s6                                // 000000007434: D1050007 20000D83
	v_exp_f32_e32 v4, v4                                       // 00000000743C: 7E084104
	v_exp_f32_e32 v5, v5                                       // 000000007440: 7E0A4105
	v_exp_f32_e32 v6, v6                                       // 000000007444: 7E0C4106
	v_exp_f32_e32 v7, v7                                       // 000000007448: 7E0E4107
	v_add_f32_e64 v4, v4, 1.0                                  // 00000000744C: D1010004 0001E504
	v_add_f32_e64 v5, v5, 1.0                                  // 000000007454: D1010005 0001E505
	v_add_f32_e64 v6, v6, 1.0                                  // 00000000745C: D1010006 0001E506
	v_add_f32_e64 v7, v7, 1.0                                  // 000000007464: D1010007 0001E507
	v_rcp_f32_e32 v4, v4                                       // 00000000746C: 7E084504
	v_rcp_f32_e32 v5, v5                                       // 000000007470: 7E0A4505
	v_rcp_f32_e32 v6, v6                                       // 000000007474: 7E0C4506
	v_rcp_f32_e32 v7, v7                                       // 000000007478: 7E0E4507
	v_mul_f32_e32 v128, v128, v4                               // 00000000747C: 0B000980
	v_mul_f32_e32 v129, v129, v5                               // 000000007480: 0B020B81
	v_mul_f32_e32 v130, v130, v6                               // 000000007484: 0B040D82
	v_mul_f32_e32 v131, v131, v7                               // 000000007488: 0B060F83
	v_mul_f32_e32 v128, v128, v192                             // 00000000748C: 0B018180
	v_mul_f32_e32 v129, v129, v193                             // 000000007490: 0B038381
	v_mul_f32_e32 v130, v130, v194                             // 000000007494: 0B058582
	v_mul_f32_e32 v131, v131, v195                             // 000000007498: 0B078783
	v_mul_f32_e64 v4, -v132, s6                                // 00000000749C: D1050004 20000D84
	v_mul_f32_e64 v5, -v133, s6                                // 0000000074A4: D1050005 20000D85
	v_mul_f32_e64 v6, -v134, s6                                // 0000000074AC: D1050006 20000D86
	v_mul_f32_e64 v7, -v135, s6                                // 0000000074B4: D1050007 20000D87
	v_exp_f32_e32 v4, v4                                       // 0000000074BC: 7E084104
	v_exp_f32_e32 v5, v5                                       // 0000000074C0: 7E0A4105
	v_exp_f32_e32 v6, v6                                       // 0000000074C4: 7E0C4106
	v_exp_f32_e32 v7, v7                                       // 0000000074C8: 7E0E4107
	v_add_f32_e64 v4, v4, 1.0                                  // 0000000074CC: D1010004 0001E504
	v_add_f32_e64 v5, v5, 1.0                                  // 0000000074D4: D1010005 0001E505
	v_add_f32_e64 v6, v6, 1.0                                  // 0000000074DC: D1010006 0001E506
	v_add_f32_e64 v7, v7, 1.0                                  // 0000000074E4: D1010007 0001E507
	v_rcp_f32_e32 v4, v4                                       // 0000000074EC: 7E084504
	v_rcp_f32_e32 v5, v5                                       // 0000000074F0: 7E0A4505
	v_rcp_f32_e32 v6, v6                                       // 0000000074F4: 7E0C4506
	v_rcp_f32_e32 v7, v7                                       // 0000000074F8: 7E0E4507
	v_mul_f32_e32 v132, v132, v4                               // 0000000074FC: 0B080984
	v_mul_f32_e32 v133, v133, v5                               // 000000007500: 0B0A0B85
	v_mul_f32_e32 v134, v134, v6                               // 000000007504: 0B0C0D86
	v_mul_f32_e32 v135, v135, v7                               // 000000007508: 0B0E0F87
	v_mul_f32_e32 v132, v132, v196                             // 00000000750C: 0B098984
	v_mul_f32_e32 v133, v133, v197                             // 000000007510: 0B0B8B85
	v_mul_f32_e32 v134, v134, v198                             // 000000007514: 0B0D8D86
	v_mul_f32_e32 v135, v135, v199                             // 000000007518: 0B0F8F87
	v_mul_f32_e64 v4, -v136, s6                                // 00000000751C: D1050004 20000D88
	v_mul_f32_e64 v5, -v137, s6                                // 000000007524: D1050005 20000D89
	v_mul_f32_e64 v6, -v138, s6                                // 00000000752C: D1050006 20000D8A
	v_mul_f32_e64 v7, -v139, s6                                // 000000007534: D1050007 20000D8B
	v_exp_f32_e32 v4, v4                                       // 00000000753C: 7E084104
	v_exp_f32_e32 v5, v5                                       // 000000007540: 7E0A4105
	v_exp_f32_e32 v6, v6                                       // 000000007544: 7E0C4106
	v_exp_f32_e32 v7, v7                                       // 000000007548: 7E0E4107
	v_add_f32_e64 v4, v4, 1.0                                  // 00000000754C: D1010004 0001E504
	v_add_f32_e64 v5, v5, 1.0                                  // 000000007554: D1010005 0001E505
	v_add_f32_e64 v6, v6, 1.0                                  // 00000000755C: D1010006 0001E506
	v_add_f32_e64 v7, v7, 1.0                                  // 000000007564: D1010007 0001E507
	v_rcp_f32_e32 v4, v4                                       // 00000000756C: 7E084504
	v_rcp_f32_e32 v5, v5                                       // 000000007570: 7E0A4505
	v_rcp_f32_e32 v6, v6                                       // 000000007574: 7E0C4506
	v_rcp_f32_e32 v7, v7                                       // 000000007578: 7E0E4507
	v_mul_f32_e32 v136, v136, v4                               // 00000000757C: 0B100988
	v_mul_f32_e32 v137, v137, v5                               // 000000007580: 0B120B89
	v_mul_f32_e32 v138, v138, v6                               // 000000007584: 0B140D8A
	v_mul_f32_e32 v139, v139, v7                               // 000000007588: 0B160F8B
	v_mul_f32_e32 v136, v136, v200                             // 00000000758C: 0B119188
	v_mul_f32_e32 v137, v137, v201                             // 000000007590: 0B139389
	v_mul_f32_e32 v138, v138, v202                             // 000000007594: 0B15958A
	v_mul_f32_e32 v139, v139, v203                             // 000000007598: 0B17978B
	v_mul_f32_e64 v4, -v140, s6                                // 00000000759C: D1050004 20000D8C
	v_mul_f32_e64 v5, -v141, s6                                // 0000000075A4: D1050005 20000D8D
	v_mul_f32_e64 v6, -v142, s6                                // 0000000075AC: D1050006 20000D8E
	v_mul_f32_e64 v7, -v143, s6                                // 0000000075B4: D1050007 20000D8F
	v_exp_f32_e32 v4, v4                                       // 0000000075BC: 7E084104
	v_exp_f32_e32 v5, v5                                       // 0000000075C0: 7E0A4105
	v_exp_f32_e32 v6, v6                                       // 0000000075C4: 7E0C4106
	v_exp_f32_e32 v7, v7                                       // 0000000075C8: 7E0E4107
	v_add_f32_e64 v4, v4, 1.0                                  // 0000000075CC: D1010004 0001E504
	v_add_f32_e64 v5, v5, 1.0                                  // 0000000075D4: D1010005 0001E505
	v_add_f32_e64 v6, v6, 1.0                                  // 0000000075DC: D1010006 0001E506
	v_add_f32_e64 v7, v7, 1.0                                  // 0000000075E4: D1010007 0001E507
	v_rcp_f32_e32 v4, v4                                       // 0000000075EC: 7E084504
	v_rcp_f32_e32 v5, v5                                       // 0000000075F0: 7E0A4505
	v_rcp_f32_e32 v6, v6                                       // 0000000075F4: 7E0C4506
	v_rcp_f32_e32 v7, v7                                       // 0000000075F8: 7E0E4507
	v_mul_f32_e32 v140, v140, v4                               // 0000000075FC: 0B18098C
	v_mul_f32_e32 v141, v141, v5                               // 000000007600: 0B1A0B8D
	v_mul_f32_e32 v142, v142, v6                               // 000000007604: 0B1C0D8E
	v_mul_f32_e32 v143, v143, v7                               // 000000007608: 0B1E0F8F
	v_mul_f32_e32 v140, v140, v204                             // 00000000760C: 0B19998C
	v_mul_f32_e32 v141, v141, v205                             // 000000007610: 0B1B9B8D
	v_mul_f32_e32 v142, v142, v206                             // 000000007614: 0B1D9D8E
	v_mul_f32_e32 v143, v143, v207                             // 000000007618: 0B1F9F8F

000000000000761c <label_1307>:
	v_cmp_u_f32_e64 s[46:47], v80, v80                         // 00000000761C: D048002E 0002A150
	v_add3_u32 v16, v80, v19, 1                                // 000000007624: D1FF0010 02062750
	v_cndmask_b32_e64 v4, v16, v18, s[46:47]                   // 00000000762C: D1000004 00BA2510
	v_cmp_u_f32_e64 s[46:47], v81, v81                         // 000000007634: D048002E 0002A351
	v_add3_u32 v16, v81, v19, 1                                // 00000000763C: D1FF0010 02062751
	v_cndmask_b32_e64 v5, v16, v18, s[46:47]                   // 000000007644: D1000005 00BA2510
	v_perm_b32 v80, v5, v4, s52                                // 00000000764C: D1ED0050 00D20905
	v_cmp_u_f32_e64 s[46:47], v82, v82                         // 000000007654: D048002E 0002A552
	v_add3_u32 v16, v82, v19, 1                                // 00000000765C: D1FF0010 02062752
	v_cndmask_b32_e64 v4, v16, v18, s[46:47]                   // 000000007664: D1000004 00BA2510
	v_cmp_u_f32_e64 s[46:47], v83, v83                         // 00000000766C: D048002E 0002A753
	v_add3_u32 v16, v83, v19, 1                                // 000000007674: D1FF0010 02062753
	v_cndmask_b32_e64 v5, v16, v18, s[46:47]                   // 00000000767C: D1000005 00BA2510
	v_perm_b32 v81, v5, v4, s52                                // 000000007684: D1ED0051 00D20905
	v_cmp_u_f32_e64 s[46:47], v84, v84                         // 00000000768C: D048002E 0002A954
	v_add3_u32 v16, v84, v19, 1                                // 000000007694: D1FF0010 02062754
	v_cndmask_b32_e64 v4, v16, v18, s[46:47]                   // 00000000769C: D1000004 00BA2510
	v_cmp_u_f32_e64 s[46:47], v85, v85                         // 0000000076A4: D048002E 0002AB55
	v_add3_u32 v16, v85, v19, 1                                // 0000000076AC: D1FF0010 02062755
	v_cndmask_b32_e64 v5, v16, v18, s[46:47]                   // 0000000076B4: D1000005 00BA2510
	v_perm_b32 v82, v5, v4, s52                                // 0000000076BC: D1ED0052 00D20905
	v_cmp_u_f32_e64 s[46:47], v86, v86                         // 0000000076C4: D048002E 0002AD56
	v_add3_u32 v16, v86, v19, 1                                // 0000000076CC: D1FF0010 02062756
	v_cndmask_b32_e64 v4, v16, v18, s[46:47]                   // 0000000076D4: D1000004 00BA2510
	v_cmp_u_f32_e64 s[46:47], v87, v87                         // 0000000076DC: D048002E 0002AF57
	v_add3_u32 v16, v87, v19, 1                                // 0000000076E4: D1FF0010 02062757
	v_cndmask_b32_e64 v5, v16, v18, s[46:47]                   // 0000000076EC: D1000005 00BA2510
	v_perm_b32 v83, v5, v4, s52                                // 0000000076F4: D1ED0053 00D20905
	v_cmp_u_f32_e64 s[46:47], v88, v88                         // 0000000076FC: D048002E 0002B158
	v_add3_u32 v16, v88, v19, 1                                // 000000007704: D1FF0010 02062758
	v_cndmask_b32_e64 v4, v16, v18, s[46:47]                   // 00000000770C: D1000004 00BA2510
	v_cmp_u_f32_e64 s[46:47], v89, v89                         // 000000007714: D048002E 0002B359
	v_add3_u32 v16, v89, v19, 1                                // 00000000771C: D1FF0010 02062759
	v_cndmask_b32_e64 v5, v16, v18, s[46:47]                   // 000000007724: D1000005 00BA2510
	v_perm_b32 v84, v5, v4, s52                                // 00000000772C: D1ED0054 00D20905
	v_cmp_u_f32_e64 s[46:47], v90, v90                         // 000000007734: D048002E 0002B55A
	v_add3_u32 v16, v90, v19, 1                                // 00000000773C: D1FF0010 0206275A
	v_cndmask_b32_e64 v4, v16, v18, s[46:47]                   // 000000007744: D1000004 00BA2510
	v_cmp_u_f32_e64 s[46:47], v91, v91                         // 00000000774C: D048002E 0002B75B
	v_add3_u32 v16, v91, v19, 1                                // 000000007754: D1FF0010 0206275B
	v_cndmask_b32_e64 v5, v16, v18, s[46:47]                   // 00000000775C: D1000005 00BA2510
	v_perm_b32 v85, v5, v4, s52                                // 000000007764: D1ED0055 00D20905
	v_cmp_u_f32_e64 s[46:47], v92, v92                         // 00000000776C: D048002E 0002B95C
	v_add3_u32 v16, v92, v19, 1                                // 000000007774: D1FF0010 0206275C
	v_cndmask_b32_e64 v4, v16, v18, s[46:47]                   // 00000000777C: D1000004 00BA2510
	v_cmp_u_f32_e64 s[46:47], v93, v93                         // 000000007784: D048002E 0002BB5D
	v_add3_u32 v16, v93, v19, 1                                // 00000000778C: D1FF0010 0206275D
	v_cndmask_b32_e64 v5, v16, v18, s[46:47]                   // 000000007794: D1000005 00BA2510
	v_perm_b32 v86, v5, v4, s52                                // 00000000779C: D1ED0056 00D20905
	v_cmp_u_f32_e64 s[46:47], v94, v94                         // 0000000077A4: D048002E 0002BD5E
	v_add3_u32 v16, v94, v19, 1                                // 0000000077AC: D1FF0010 0206275E
	v_cndmask_b32_e64 v4, v16, v18, s[46:47]                   // 0000000077B4: D1000004 00BA2510
	v_cmp_u_f32_e64 s[46:47], v95, v95                         // 0000000077BC: D048002E 0002BF5F
	v_add3_u32 v16, v95, v19, 1                                // 0000000077C4: D1FF0010 0206275F
	v_cndmask_b32_e64 v5, v16, v18, s[46:47]                   // 0000000077CC: D1000005 00BA2510
	v_perm_b32 v87, v5, v4, s52                                // 0000000077D4: D1ED0057 00D20905
	v_cmp_u_f32_e64 s[46:47], v96, v96                         // 0000000077DC: D048002E 0002C160
	v_add3_u32 v16, v96, v19, 1                                // 0000000077E4: D1FF0010 02062760
	v_cndmask_b32_e64 v4, v16, v18, s[46:47]                   // 0000000077EC: D1000004 00BA2510
	v_cmp_u_f32_e64 s[46:47], v97, v97                         // 0000000077F4: D048002E 0002C361
	v_add3_u32 v16, v97, v19, 1                                // 0000000077FC: D1FF0010 02062761
	v_cndmask_b32_e64 v5, v16, v18, s[46:47]                   // 000000007804: D1000005 00BA2510
	v_perm_b32 v88, v5, v4, s52                                // 00000000780C: D1ED0058 00D20905
	v_cmp_u_f32_e64 s[46:47], v98, v98                         // 000000007814: D048002E 0002C562
	v_add3_u32 v16, v98, v19, 1                                // 00000000781C: D1FF0010 02062762
	v_cndmask_b32_e64 v4, v16, v18, s[46:47]                   // 000000007824: D1000004 00BA2510
	v_cmp_u_f32_e64 s[46:47], v99, v99                         // 00000000782C: D048002E 0002C763
	v_add3_u32 v16, v99, v19, 1                                // 000000007834: D1FF0010 02062763
	v_cndmask_b32_e64 v5, v16, v18, s[46:47]                   // 00000000783C: D1000005 00BA2510
	v_perm_b32 v89, v5, v4, s52                                // 000000007844: D1ED0059 00D20905
	v_cmp_u_f32_e64 s[46:47], v100, v100                       // 00000000784C: D048002E 0002C964
	v_add3_u32 v16, v100, v19, 1                               // 000000007854: D1FF0010 02062764
	v_cndmask_b32_e64 v4, v16, v18, s[46:47]                   // 00000000785C: D1000004 00BA2510
	v_cmp_u_f32_e64 s[46:47], v101, v101                       // 000000007864: D048002E 0002CB65
	v_add3_u32 v16, v101, v19, 1                               // 00000000786C: D1FF0010 02062765
	v_cndmask_b32_e64 v5, v16, v18, s[46:47]                   // 000000007874: D1000005 00BA2510
	v_perm_b32 v90, v5, v4, s52                                // 00000000787C: D1ED005A 00D20905
	v_cmp_u_f32_e64 s[46:47], v102, v102                       // 000000007884: D048002E 0002CD66
	v_add3_u32 v16, v102, v19, 1                               // 00000000788C: D1FF0010 02062766
	v_cndmask_b32_e64 v4, v16, v18, s[46:47]                   // 000000007894: D1000004 00BA2510
	v_cmp_u_f32_e64 s[46:47], v103, v103                       // 00000000789C: D048002E 0002CF67
	v_add3_u32 v16, v103, v19, 1                               // 0000000078A4: D1FF0010 02062767
	v_cndmask_b32_e64 v5, v16, v18, s[46:47]                   // 0000000078AC: D1000005 00BA2510
	v_perm_b32 v91, v5, v4, s52                                // 0000000078B4: D1ED005B 00D20905
	v_cmp_u_f32_e64 s[46:47], v104, v104                       // 0000000078BC: D048002E 0002D168
	v_add3_u32 v16, v104, v19, 1                               // 0000000078C4: D1FF0010 02062768
	v_cndmask_b32_e64 v4, v16, v18, s[46:47]                   // 0000000078CC: D1000004 00BA2510
	v_cmp_u_f32_e64 s[46:47], v105, v105                       // 0000000078D4: D048002E 0002D369
	v_add3_u32 v16, v105, v19, 1                               // 0000000078DC: D1FF0010 02062769
	v_cndmask_b32_e64 v5, v16, v18, s[46:47]                   // 0000000078E4: D1000005 00BA2510
	v_perm_b32 v92, v5, v4, s52                                // 0000000078EC: D1ED005C 00D20905
	v_cmp_u_f32_e64 s[46:47], v106, v106                       // 0000000078F4: D048002E 0002D56A
	v_add3_u32 v16, v106, v19, 1                               // 0000000078FC: D1FF0010 0206276A
	v_cndmask_b32_e64 v4, v16, v18, s[46:47]                   // 000000007904: D1000004 00BA2510
	v_cmp_u_f32_e64 s[46:47], v107, v107                       // 00000000790C: D048002E 0002D76B
	v_add3_u32 v16, v107, v19, 1                               // 000000007914: D1FF0010 0206276B
	v_cndmask_b32_e64 v5, v16, v18, s[46:47]                   // 00000000791C: D1000005 00BA2510
	v_perm_b32 v93, v5, v4, s52                                // 000000007924: D1ED005D 00D20905
	v_cmp_u_f32_e64 s[46:47], v108, v108                       // 00000000792C: D048002E 0002D96C
	v_add3_u32 v16, v108, v19, 1                               // 000000007934: D1FF0010 0206276C
	v_cndmask_b32_e64 v4, v16, v18, s[46:47]                   // 00000000793C: D1000004 00BA2510
	v_cmp_u_f32_e64 s[46:47], v109, v109                       // 000000007944: D048002E 0002DB6D
	v_add3_u32 v16, v109, v19, 1                               // 00000000794C: D1FF0010 0206276D
	v_cndmask_b32_e64 v5, v16, v18, s[46:47]                   // 000000007954: D1000005 00BA2510
	v_perm_b32 v94, v5, v4, s52                                // 00000000795C: D1ED005E 00D20905
	v_cmp_u_f32_e64 s[46:47], v110, v110                       // 000000007964: D048002E 0002DD6E
	v_add3_u32 v16, v110, v19, 1                               // 00000000796C: D1FF0010 0206276E
	v_cndmask_b32_e64 v4, v16, v18, s[46:47]                   // 000000007974: D1000004 00BA2510
	v_cmp_u_f32_e64 s[46:47], v111, v111                       // 00000000797C: D048002E 0002DF6F
	v_add3_u32 v16, v111, v19, 1                               // 000000007984: D1FF0010 0206276F
	v_cndmask_b32_e64 v5, v16, v18, s[46:47]                   // 00000000798C: D1000005 00BA2510
	v_perm_b32 v95, v5, v4, s52                                // 000000007994: D1ED005F 00D20905
	v_cmp_u_f32_e64 s[46:47], v112, v112                       // 00000000799C: D048002E 0002E170
	v_add3_u32 v16, v112, v19, 1                               // 0000000079A4: D1FF0010 02062770
	v_cndmask_b32_e64 v4, v16, v18, s[46:47]                   // 0000000079AC: D1000004 00BA2510
	v_cmp_u_f32_e64 s[46:47], v113, v113                       // 0000000079B4: D048002E 0002E371
	v_add3_u32 v16, v113, v19, 1                               // 0000000079BC: D1FF0010 02062771
	v_cndmask_b32_e64 v5, v16, v18, s[46:47]                   // 0000000079C4: D1000005 00BA2510
	v_perm_b32 v96, v5, v4, s52                                // 0000000079CC: D1ED0060 00D20905
	v_cmp_u_f32_e64 s[46:47], v114, v114                       // 0000000079D4: D048002E 0002E572
	v_add3_u32 v16, v114, v19, 1                               // 0000000079DC: D1FF0010 02062772
	v_cndmask_b32_e64 v4, v16, v18, s[46:47]                   // 0000000079E4: D1000004 00BA2510
	v_cmp_u_f32_e64 s[46:47], v115, v115                       // 0000000079EC: D048002E 0002E773
	v_add3_u32 v16, v115, v19, 1                               // 0000000079F4: D1FF0010 02062773
	v_cndmask_b32_e64 v5, v16, v18, s[46:47]                   // 0000000079FC: D1000005 00BA2510
	v_perm_b32 v97, v5, v4, s52                                // 000000007A04: D1ED0061 00D20905
	v_cmp_u_f32_e64 s[46:47], v116, v116                       // 000000007A0C: D048002E 0002E974
	v_add3_u32 v16, v116, v19, 1                               // 000000007A14: D1FF0010 02062774
	v_cndmask_b32_e64 v4, v16, v18, s[46:47]                   // 000000007A1C: D1000004 00BA2510
	v_cmp_u_f32_e64 s[46:47], v117, v117                       // 000000007A24: D048002E 0002EB75
	v_add3_u32 v16, v117, v19, 1                               // 000000007A2C: D1FF0010 02062775
	v_cndmask_b32_e64 v5, v16, v18, s[46:47]                   // 000000007A34: D1000005 00BA2510
	v_perm_b32 v98, v5, v4, s52                                // 000000007A3C: D1ED0062 00D20905
	v_cmp_u_f32_e64 s[46:47], v118, v118                       // 000000007A44: D048002E 0002ED76
	v_add3_u32 v16, v118, v19, 1                               // 000000007A4C: D1FF0010 02062776
	v_cndmask_b32_e64 v4, v16, v18, s[46:47]                   // 000000007A54: D1000004 00BA2510
	v_cmp_u_f32_e64 s[46:47], v119, v119                       // 000000007A5C: D048002E 0002EF77
	v_add3_u32 v16, v119, v19, 1                               // 000000007A64: D1FF0010 02062777
	v_cndmask_b32_e64 v5, v16, v18, s[46:47]                   // 000000007A6C: D1000005 00BA2510
	v_perm_b32 v99, v5, v4, s52                                // 000000007A74: D1ED0063 00D20905
	v_cmp_u_f32_e64 s[46:47], v120, v120                       // 000000007A7C: D048002E 0002F178
	v_add3_u32 v16, v120, v19, 1                               // 000000007A84: D1FF0010 02062778
	v_cndmask_b32_e64 v4, v16, v18, s[46:47]                   // 000000007A8C: D1000004 00BA2510
	v_cmp_u_f32_e64 s[46:47], v121, v121                       // 000000007A94: D048002E 0002F379
	v_add3_u32 v16, v121, v19, 1                               // 000000007A9C: D1FF0010 02062779
	v_cndmask_b32_e64 v5, v16, v18, s[46:47]                   // 000000007AA4: D1000005 00BA2510
	v_perm_b32 v100, v5, v4, s52                               // 000000007AAC: D1ED0064 00D20905
	v_cmp_u_f32_e64 s[46:47], v122, v122                       // 000000007AB4: D048002E 0002F57A
	v_add3_u32 v16, v122, v19, 1                               // 000000007ABC: D1FF0010 0206277A
	v_cndmask_b32_e64 v4, v16, v18, s[46:47]                   // 000000007AC4: D1000004 00BA2510
	v_cmp_u_f32_e64 s[46:47], v123, v123                       // 000000007ACC: D048002E 0002F77B
	v_add3_u32 v16, v123, v19, 1                               // 000000007AD4: D1FF0010 0206277B
	v_cndmask_b32_e64 v5, v16, v18, s[46:47]                   // 000000007ADC: D1000005 00BA2510
	v_perm_b32 v101, v5, v4, s52                               // 000000007AE4: D1ED0065 00D20905
	v_cmp_u_f32_e64 s[46:47], v124, v124                       // 000000007AEC: D048002E 0002F97C
	v_add3_u32 v16, v124, v19, 1                               // 000000007AF4: D1FF0010 0206277C
	v_cndmask_b32_e64 v4, v16, v18, s[46:47]                   // 000000007AFC: D1000004 00BA2510
	v_cmp_u_f32_e64 s[46:47], v125, v125                       // 000000007B04: D048002E 0002FB7D
	v_add3_u32 v16, v125, v19, 1                               // 000000007B0C: D1FF0010 0206277D
	v_cndmask_b32_e64 v5, v16, v18, s[46:47]                   // 000000007B14: D1000005 00BA2510
	v_perm_b32 v102, v5, v4, s52                               // 000000007B1C: D1ED0066 00D20905
	v_cmp_u_f32_e64 s[46:47], v126, v126                       // 000000007B24: D048002E 0002FD7E
	v_add3_u32 v16, v126, v19, 1                               // 000000007B2C: D1FF0010 0206277E
	v_cndmask_b32_e64 v4, v16, v18, s[46:47]                   // 000000007B34: D1000004 00BA2510
	v_cmp_u_f32_e64 s[46:47], v127, v127                       // 000000007B3C: D048002E 0002FF7F
	v_add3_u32 v16, v127, v19, 1                               // 000000007B44: D1FF0010 0206277F
	v_cndmask_b32_e64 v5, v16, v18, s[46:47]                   // 000000007B4C: D1000005 00BA2510
	v_perm_b32 v103, v5, v4, s52                               // 000000007B54: D1ED0067 00D20905
	v_cmp_u_f32_e64 s[46:47], v128, v128                       // 000000007B5C: D048002E 00030180
	v_add3_u32 v16, v128, v19, 1                               // 000000007B64: D1FF0010 02062780
	v_cndmask_b32_e64 v4, v16, v18, s[46:47]                   // 000000007B6C: D1000004 00BA2510
	v_cmp_u_f32_e64 s[46:47], v129, v129                       // 000000007B74: D048002E 00030381
	v_add3_u32 v16, v129, v19, 1                               // 000000007B7C: D1FF0010 02062781
	v_cndmask_b32_e64 v5, v16, v18, s[46:47]                   // 000000007B84: D1000005 00BA2510
	v_perm_b32 v104, v5, v4, s52                               // 000000007B8C: D1ED0068 00D20905
	v_cmp_u_f32_e64 s[46:47], v130, v130                       // 000000007B94: D048002E 00030582
	v_add3_u32 v16, v130, v19, 1                               // 000000007B9C: D1FF0010 02062782
	v_cndmask_b32_e64 v4, v16, v18, s[46:47]                   // 000000007BA4: D1000004 00BA2510
	v_cmp_u_f32_e64 s[46:47], v131, v131                       // 000000007BAC: D048002E 00030783
	v_add3_u32 v16, v131, v19, 1                               // 000000007BB4: D1FF0010 02062783
	v_cndmask_b32_e64 v5, v16, v18, s[46:47]                   // 000000007BBC: D1000005 00BA2510
	v_perm_b32 v105, v5, v4, s52                               // 000000007BC4: D1ED0069 00D20905
	v_cmp_u_f32_e64 s[46:47], v132, v132                       // 000000007BCC: D048002E 00030984
	v_add3_u32 v16, v132, v19, 1                               // 000000007BD4: D1FF0010 02062784
	v_cndmask_b32_e64 v4, v16, v18, s[46:47]                   // 000000007BDC: D1000004 00BA2510
	v_cmp_u_f32_e64 s[46:47], v133, v133                       // 000000007BE4: D048002E 00030B85
	v_add3_u32 v16, v133, v19, 1                               // 000000007BEC: D1FF0010 02062785
	v_cndmask_b32_e64 v5, v16, v18, s[46:47]                   // 000000007BF4: D1000005 00BA2510
	v_perm_b32 v106, v5, v4, s52                               // 000000007BFC: D1ED006A 00D20905
	v_cmp_u_f32_e64 s[46:47], v134, v134                       // 000000007C04: D048002E 00030D86
	v_add3_u32 v16, v134, v19, 1                               // 000000007C0C: D1FF0010 02062786
	v_cndmask_b32_e64 v4, v16, v18, s[46:47]                   // 000000007C14: D1000004 00BA2510
	v_cmp_u_f32_e64 s[46:47], v135, v135                       // 000000007C1C: D048002E 00030F87
	v_add3_u32 v16, v135, v19, 1                               // 000000007C24: D1FF0010 02062787
	v_cndmask_b32_e64 v5, v16, v18, s[46:47]                   // 000000007C2C: D1000005 00BA2510
	v_perm_b32 v107, v5, v4, s52                               // 000000007C34: D1ED006B 00D20905
	v_cmp_u_f32_e64 s[46:47], v136, v136                       // 000000007C3C: D048002E 00031188
	v_add3_u32 v16, v136, v19, 1                               // 000000007C44: D1FF0010 02062788
	v_cndmask_b32_e64 v4, v16, v18, s[46:47]                   // 000000007C4C: D1000004 00BA2510
	v_cmp_u_f32_e64 s[46:47], v137, v137                       // 000000007C54: D048002E 00031389
	v_add3_u32 v16, v137, v19, 1                               // 000000007C5C: D1FF0010 02062789
	v_cndmask_b32_e64 v5, v16, v18, s[46:47]                   // 000000007C64: D1000005 00BA2510
	v_perm_b32 v108, v5, v4, s52                               // 000000007C6C: D1ED006C 00D20905
	v_cmp_u_f32_e64 s[46:47], v138, v138                       // 000000007C74: D048002E 0003158A
	v_add3_u32 v16, v138, v19, 1                               // 000000007C7C: D1FF0010 0206278A
	v_cndmask_b32_e64 v4, v16, v18, s[46:47]                   // 000000007C84: D1000004 00BA2510
	v_cmp_u_f32_e64 s[46:47], v139, v139                       // 000000007C8C: D048002E 0003178B
	v_add3_u32 v16, v139, v19, 1                               // 000000007C94: D1FF0010 0206278B
	v_cndmask_b32_e64 v5, v16, v18, s[46:47]                   // 000000007C9C: D1000005 00BA2510
	v_perm_b32 v109, v5, v4, s52                               // 000000007CA4: D1ED006D 00D20905
	v_cmp_u_f32_e64 s[46:47], v140, v140                       // 000000007CAC: D048002E 0003198C
	v_add3_u32 v16, v140, v19, 1                               // 000000007CB4: D1FF0010 0206278C
	v_cndmask_b32_e64 v4, v16, v18, s[46:47]                   // 000000007CBC: D1000004 00BA2510
	v_cmp_u_f32_e64 s[46:47], v141, v141                       // 000000007CC4: D048002E 00031B8D
	v_add3_u32 v16, v141, v19, 1                               // 000000007CCC: D1FF0010 0206278D
	v_cndmask_b32_e64 v5, v16, v18, s[46:47]                   // 000000007CD4: D1000005 00BA2510
	v_perm_b32 v110, v5, v4, s52                               // 000000007CDC: D1ED006E 00D20905
	v_cmp_u_f32_e64 s[46:47], v142, v142                       // 000000007CE4: D048002E 00031D8E
	v_add3_u32 v16, v142, v19, 1                               // 000000007CEC: D1FF0010 0206278E
	v_cndmask_b32_e64 v4, v16, v18, s[46:47]                   // 000000007CF4: D1000004 00BA2510
	v_cmp_u_f32_e64 s[46:47], v143, v143                       // 000000007CFC: D048002E 00031F8F
	v_add3_u32 v16, v143, v19, 1                               // 000000007D04: D1FF0010 0206278F
	v_cndmask_b32_e64 v5, v16, v18, s[46:47]                   // 000000007D0C: D1000005 00BA2510
	v_perm_b32 v111, v5, v4, s52                               // 000000007D14: D1ED006F 00D20905
	ds_write_b64 v20, v[80:81]                                 // 000000007D1C: D89A0000 00005014
	ds_write_b64 v20, v[82:83] offset:4352                     // 000000007D24: D89A1100 00005214
	ds_write_b64 v20, v[84:85] offset:8704                     // 000000007D2C: D89A2200 00005414
	ds_write_b64 v20, v[86:87] offset:13056                    // 000000007D34: D89A3300 00005614
	ds_write_b64 v20, v[88:89] offset:17408                    // 000000007D3C: D89A4400 00005814
	ds_write_b64 v20, v[90:91] offset:21760                    // 000000007D44: D89A5500 00005A14
	ds_write_b64 v20, v[92:93] offset:26112                    // 000000007D4C: D89A6600 00005C14
	ds_write_b64 v20, v[94:95] offset:30464                    // 000000007D54: D89A7700 00005E14
	ds_write_b64 v20, v[96:97] offset:2176                     // 000000007D5C: D89A0880 00006014
	ds_write_b64 v20, v[98:99] offset:6528                     // 000000007D64: D89A1980 00006214
	ds_write_b64 v20, v[100:101] offset:10880                  // 000000007D6C: D89A2A80 00006414
	ds_write_b64 v20, v[102:103] offset:15232                  // 000000007D74: D89A3B80 00006614
	ds_write_b64 v20, v[104:105] offset:19584                  // 000000007D7C: D89A4C80 00006814
	ds_write_b64 v20, v[106:107] offset:23936                  // 000000007D84: D89A5D80 00006A14
	ds_write_b64 v20, v[108:109] offset:28288                  // 000000007D8C: D89A6E80 00006C14
	ds_write_b64 v20, v[110:111] offset:32640                  // 000000007D94: D89A7F80 00006E14
	v_lshrrev_b32_e32 v4, 5, v0                                // 000000007D9C: 20080085
	v_xor_b32_e32 v5, 1, v4                                    // 000000007DA0: 2A0A0881
	s_mul_i32 s60, s65, 2                                      // 000000007DA4: 923C8241
	s_cmp_eq_u32 s88, 0                                        // 000000007DA8: BF068058
	s_cselect_b32 s61, 1, 4                                    // 000000007DAC: 853D8481
	s_mul_i32 s60, s61, s60                                    // 000000007DB0: 923C3C3D
	v_readlane_b32 s82, v3, 0                                  // 000000007DB4: D2890052 00010103
	s_lshr_b32 s61, s82, 24                                    // 000000007DBC: 8F3D9852
	s_and_b32 s82, s82, 0xffffff                               // 000000007DC0: 8652FF52 00FFFFFF
	s_mul_i32 s82, s82, s71                                    // 000000007DC8: 92524752
	s_mul_i32 s61, s60, s61                                    // 000000007DCC: 923D3D3C
	s_add_u32 s82, s82, s61                                    // 000000007DD0: 80523D52
	v_mul_lo_u32 v6, v5, s82                                   // 000000007DD4: D2850006 0000A505
	v_readlane_b32 s82, v3, 1                                  // 000000007DDC: D2890052 00010303
	s_lshr_b32 s61, s82, 24                                    // 000000007DE4: 8F3D9852
	s_and_b32 s82, s82, 0xffffff                               // 000000007DE8: 8652FF52 00FFFFFF
	s_mul_i32 s82, s82, s71                                    // 000000007DF0: 92524752
	s_mul_i32 s61, s60, s61                                    // 000000007DF4: 923D3D3C
	s_add_u32 s82, s82, s61                                    // 000000007DF8: 80523D52
	v_mul_lo_u32 v7, v4, s82                                   // 000000007DFC: D2850007 0000A504
	v_add_u32_e32 v62, v6, v7                                  // 000000007E04: 687C0F06
	v_readlane_b32 s82, v3, 2                                  // 000000007E08: D2890052 00010503
	s_lshr_b32 s61, s82, 24                                    // 000000007E10: 8F3D9852
	s_and_b32 s82, s82, 0xffffff                               // 000000007E14: 8652FF52 00FFFFFF
	s_mul_i32 s82, s82, s71                                    // 000000007E1C: 92524752
	s_mul_i32 s61, s60, s61                                    // 000000007E20: 923D3D3C
	s_add_u32 s82, s82, s61                                    // 000000007E24: 80523D52
	v_mul_lo_u32 v6, v5, s82                                   // 000000007E28: D2850006 0000A505
	v_readlane_b32 s82, v3, 3                                  // 000000007E30: D2890052 00010703
	s_lshr_b32 s61, s82, 24                                    // 000000007E38: 8F3D9852
	s_and_b32 s82, s82, 0xffffff                               // 000000007E3C: 8652FF52 00FFFFFF
	s_mul_i32 s82, s82, s71                                    // 000000007E44: 92524752
	s_mul_i32 s61, s60, s61                                    // 000000007E48: 923D3D3C
	s_add_u32 s82, s82, s61                                    // 000000007E4C: 80523D52
	v_mul_lo_u32 v7, v4, s82                                   // 000000007E50: D2850007 0000A504
	v_add_u32_e32 v63, v6, v7                                  // 000000007E58: 687E0F06
	v_readlane_b32 s82, v3, 4                                  // 000000007E5C: D2890052 00010903
	s_lshr_b32 s61, s82, 24                                    // 000000007E64: 8F3D9852
	s_and_b32 s82, s82, 0xffffff                               // 000000007E68: 8652FF52 00FFFFFF
	s_mul_i32 s82, s82, s71                                    // 000000007E70: 92524752
	s_mul_i32 s61, s60, s61                                    // 000000007E74: 923D3D3C
	s_add_u32 s82, s82, s61                                    // 000000007E78: 80523D52
	v_mul_lo_u32 v6, v5, s82                                   // 000000007E7C: D2850006 0000A505
	v_readlane_b32 s82, v3, 5                                  // 000000007E84: D2890052 00010B03
	s_lshr_b32 s61, s82, 24                                    // 000000007E8C: 8F3D9852
	s_and_b32 s82, s82, 0xffffff                               // 000000007E90: 8652FF52 00FFFFFF
	s_mul_i32 s82, s82, s71                                    // 000000007E98: 92524752
	s_mul_i32 s61, s60, s61                                    // 000000007E9C: 923D3D3C
	s_add_u32 s82, s82, s61                                    // 000000007EA0: 80523D52
	v_mul_lo_u32 v7, v4, s82                                   // 000000007EA4: D2850007 0000A504
	v_add_u32_e32 v64, v6, v7                                  // 000000007EAC: 68800F06
	v_readlane_b32 s82, v3, 6                                  // 000000007EB0: D2890052 00010D03
	s_lshr_b32 s61, s82, 24                                    // 000000007EB8: 8F3D9852
	s_and_b32 s82, s82, 0xffffff                               // 000000007EBC: 8652FF52 00FFFFFF
	s_mul_i32 s82, s82, s71                                    // 000000007EC4: 92524752
	s_mul_i32 s61, s60, s61                                    // 000000007EC8: 923D3D3C
	s_add_u32 s82, s82, s61                                    // 000000007ECC: 80523D52
	v_mul_lo_u32 v6, v5, s82                                   // 000000007ED0: D2850006 0000A505
	v_readlane_b32 s82, v3, 7                                  // 000000007ED8: D2890052 00010F03
	s_lshr_b32 s61, s82, 24                                    // 000000007EE0: 8F3D9852
	s_and_b32 s82, s82, 0xffffff                               // 000000007EE4: 8652FF52 00FFFFFF
	s_mul_i32 s82, s82, s71                                    // 000000007EEC: 92524752
	s_mul_i32 s61, s60, s61                                    // 000000007EF0: 923D3D3C
	s_add_u32 s82, s82, s61                                    // 000000007EF4: 80523D52
	v_mul_lo_u32 v7, v4, s82                                   // 000000007EF8: D2850007 0000A504
	v_add_u32_e32 v65, v6, v7                                  // 000000007F00: 68820F06
	v_readlane_b32 s82, v3, 8                                  // 000000007F04: D2890052 00011103
	s_lshr_b32 s61, s82, 24                                    // 000000007F0C: 8F3D9852
	s_and_b32 s82, s82, 0xffffff                               // 000000007F10: 8652FF52 00FFFFFF
	s_mul_i32 s82, s82, s71                                    // 000000007F18: 92524752
	s_mul_i32 s61, s60, s61                                    // 000000007F1C: 923D3D3C
	s_add_u32 s82, s82, s61                                    // 000000007F20: 80523D52
	v_mul_lo_u32 v6, v5, s82                                   // 000000007F24: D2850006 0000A505
	v_readlane_b32 s82, v3, 9                                  // 000000007F2C: D2890052 00011303
	s_lshr_b32 s61, s82, 24                                    // 000000007F34: 8F3D9852
	s_and_b32 s82, s82, 0xffffff                               // 000000007F38: 8652FF52 00FFFFFF
	s_mul_i32 s82, s82, s71                                    // 000000007F40: 92524752
	s_mul_i32 s61, s60, s61                                    // 000000007F44: 923D3D3C
	s_add_u32 s82, s82, s61                                    // 000000007F48: 80523D52
	v_mul_lo_u32 v7, v4, s82                                   // 000000007F4C: D2850007 0000A504
	v_add_u32_e32 v66, v6, v7                                  // 000000007F54: 68840F06
	v_readlane_b32 s82, v3, 10                                 // 000000007F58: D2890052 00011503
	s_lshr_b32 s61, s82, 24                                    // 000000007F60: 8F3D9852
	s_and_b32 s82, s82, 0xffffff                               // 000000007F64: 8652FF52 00FFFFFF
	s_mul_i32 s82, s82, s71                                    // 000000007F6C: 92524752
	s_mul_i32 s61, s60, s61                                    // 000000007F70: 923D3D3C
	s_add_u32 s82, s82, s61                                    // 000000007F74: 80523D52
	v_mul_lo_u32 v6, v5, s82                                   // 000000007F78: D2850006 0000A505
	v_readlane_b32 s82, v3, 11                                 // 000000007F80: D2890052 00011703
	s_lshr_b32 s61, s82, 24                                    // 000000007F88: 8F3D9852
	s_and_b32 s82, s82, 0xffffff                               // 000000007F8C: 8652FF52 00FFFFFF
	s_mul_i32 s82, s82, s71                                    // 000000007F94: 92524752
	s_mul_i32 s61, s60, s61                                    // 000000007F98: 923D3D3C
	s_add_u32 s82, s82, s61                                    // 000000007F9C: 80523D52
	v_mul_lo_u32 v7, v4, s82                                   // 000000007FA0: D2850007 0000A504
	v_add_u32_e32 v67, v6, v7                                  // 000000007FA8: 68860F06
	v_readlane_b32 s82, v3, 12                                 // 000000007FAC: D2890052 00011903
	s_lshr_b32 s61, s82, 24                                    // 000000007FB4: 8F3D9852
	s_and_b32 s82, s82, 0xffffff                               // 000000007FB8: 8652FF52 00FFFFFF
	s_mul_i32 s82, s82, s71                                    // 000000007FC0: 92524752
	s_mul_i32 s61, s60, s61                                    // 000000007FC4: 923D3D3C
	s_add_u32 s82, s82, s61                                    // 000000007FC8: 80523D52
	v_mul_lo_u32 v6, v5, s82                                   // 000000007FCC: D2850006 0000A505
	v_readlane_b32 s82, v3, 13                                 // 000000007FD4: D2890052 00011B03
	s_lshr_b32 s61, s82, 24                                    // 000000007FDC: 8F3D9852
	s_and_b32 s82, s82, 0xffffff                               // 000000007FE0: 8652FF52 00FFFFFF
	s_mul_i32 s82, s82, s71                                    // 000000007FE8: 92524752
	s_mul_i32 s61, s60, s61                                    // 000000007FEC: 923D3D3C
	s_add_u32 s82, s82, s61                                    // 000000007FF0: 80523D52
	v_mul_lo_u32 v7, v4, s82                                   // 000000007FF4: D2850007 0000A504
	v_add_u32_e32 v68, v6, v7                                  // 000000007FFC: 68880F06
	v_readlane_b32 s82, v3, 14                                 // 000000008000: D2890052 00011D03
	s_lshr_b32 s61, s82, 24                                    // 000000008008: 8F3D9852
	s_and_b32 s82, s82, 0xffffff                               // 00000000800C: 8652FF52 00FFFFFF
	s_mul_i32 s82, s82, s71                                    // 000000008014: 92524752
	s_mul_i32 s61, s60, s61                                    // 000000008018: 923D3D3C
	s_add_u32 s82, s82, s61                                    // 00000000801C: 80523D52
	v_mul_lo_u32 v6, v5, s82                                   // 000000008020: D2850006 0000A505
	v_readlane_b32 s82, v3, 15                                 // 000000008028: D2890052 00011F03
	s_lshr_b32 s61, s82, 24                                    // 000000008030: 8F3D9852
	s_and_b32 s82, s82, 0xffffff                               // 000000008034: 8652FF52 00FFFFFF
	s_mul_i32 s82, s82, s71                                    // 00000000803C: 92524752
	s_mul_i32 s61, s60, s61                                    // 000000008040: 923D3D3C
	s_add_u32 s82, s82, s61                                    // 000000008044: 80523D52
	v_mul_lo_u32 v7, v4, s82                                   // 000000008048: D2850007 0000A504
	v_add_u32_e32 v69, v6, v7                                  // 000000008050: 688A0F06
	v_readlane_b32 s82, v3, 16                                 // 000000008054: D2890052 00012103
	s_lshr_b32 s61, s82, 24                                    // 00000000805C: 8F3D9852
	s_and_b32 s82, s82, 0xffffff                               // 000000008060: 8652FF52 00FFFFFF
	s_mul_i32 s82, s82, s71                                    // 000000008068: 92524752
	s_mul_i32 s61, s60, s61                                    // 00000000806C: 923D3D3C
	s_add_u32 s82, s82, s61                                    // 000000008070: 80523D52
	v_mul_lo_u32 v6, v5, s82                                   // 000000008074: D2850006 0000A505
	v_readlane_b32 s82, v3, 17                                 // 00000000807C: D2890052 00012303
	s_lshr_b32 s61, s82, 24                                    // 000000008084: 8F3D9852
	s_and_b32 s82, s82, 0xffffff                               // 000000008088: 8652FF52 00FFFFFF
	s_mul_i32 s82, s82, s71                                    // 000000008090: 92524752
	s_mul_i32 s61, s60, s61                                    // 000000008094: 923D3D3C
	s_add_u32 s82, s82, s61                                    // 000000008098: 80523D52
	v_mul_lo_u32 v7, v4, s82                                   // 00000000809C: D2850007 0000A504
	v_add_u32_e32 v70, v6, v7                                  // 0000000080A4: 688C0F06
	v_readlane_b32 s82, v3, 18                                 // 0000000080A8: D2890052 00012503
	s_lshr_b32 s61, s82, 24                                    // 0000000080B0: 8F3D9852
	s_and_b32 s82, s82, 0xffffff                               // 0000000080B4: 8652FF52 00FFFFFF
	s_mul_i32 s82, s82, s71                                    // 0000000080BC: 92524752
	s_mul_i32 s61, s60, s61                                    // 0000000080C0: 923D3D3C
	s_add_u32 s82, s82, s61                                    // 0000000080C4: 80523D52
	v_mul_lo_u32 v6, v5, s82                                   // 0000000080C8: D2850006 0000A505
	v_readlane_b32 s82, v3, 19                                 // 0000000080D0: D2890052 00012703
	s_lshr_b32 s61, s82, 24                                    // 0000000080D8: 8F3D9852
	s_and_b32 s82, s82, 0xffffff                               // 0000000080DC: 8652FF52 00FFFFFF
	s_mul_i32 s82, s82, s71                                    // 0000000080E4: 92524752
	s_mul_i32 s61, s60, s61                                    // 0000000080E8: 923D3D3C
	s_add_u32 s82, s82, s61                                    // 0000000080EC: 80523D52
	v_mul_lo_u32 v7, v4, s82                                   // 0000000080F0: D2850007 0000A504
	v_add_u32_e32 v71, v6, v7                                  // 0000000080F8: 688E0F06
	v_readlane_b32 s82, v3, 20                                 // 0000000080FC: D2890052 00012903
	s_lshr_b32 s61, s82, 24                                    // 000000008104: 8F3D9852
	s_and_b32 s82, s82, 0xffffff                               // 000000008108: 8652FF52 00FFFFFF
	s_mul_i32 s82, s82, s71                                    // 000000008110: 92524752
	s_mul_i32 s61, s60, s61                                    // 000000008114: 923D3D3C
	s_add_u32 s82, s82, s61                                    // 000000008118: 80523D52
	v_mul_lo_u32 v6, v5, s82                                   // 00000000811C: D2850006 0000A505
	v_readlane_b32 s82, v3, 21                                 // 000000008124: D2890052 00012B03
	s_lshr_b32 s61, s82, 24                                    // 00000000812C: 8F3D9852
	s_and_b32 s82, s82, 0xffffff                               // 000000008130: 8652FF52 00FFFFFF
	s_mul_i32 s82, s82, s71                                    // 000000008138: 92524752
	s_mul_i32 s61, s60, s61                                    // 00000000813C: 923D3D3C
	s_add_u32 s82, s82, s61                                    // 000000008140: 80523D52
	v_mul_lo_u32 v7, v4, s82                                   // 000000008144: D2850007 0000A504
	v_add_u32_e32 v72, v6, v7                                  // 00000000814C: 68900F06
	v_readlane_b32 s82, v3, 22                                 // 000000008150: D2890052 00012D03
	s_lshr_b32 s61, s82, 24                                    // 000000008158: 8F3D9852
	s_and_b32 s82, s82, 0xffffff                               // 00000000815C: 8652FF52 00FFFFFF
	s_mul_i32 s82, s82, s71                                    // 000000008164: 92524752
	s_mul_i32 s61, s60, s61                                    // 000000008168: 923D3D3C
	s_add_u32 s82, s82, s61                                    // 00000000816C: 80523D52
	v_mul_lo_u32 v6, v5, s82                                   // 000000008170: D2850006 0000A505
	v_readlane_b32 s82, v3, 23                                 // 000000008178: D2890052 00012F03
	s_lshr_b32 s61, s82, 24                                    // 000000008180: 8F3D9852
	s_and_b32 s82, s82, 0xffffff                               // 000000008184: 8652FF52 00FFFFFF
	s_mul_i32 s82, s82, s71                                    // 00000000818C: 92524752
	s_mul_i32 s61, s60, s61                                    // 000000008190: 923D3D3C
	s_add_u32 s82, s82, s61                                    // 000000008194: 80523D52
	v_mul_lo_u32 v7, v4, s82                                   // 000000008198: D2850007 0000A504
	v_add_u32_e32 v73, v6, v7                                  // 0000000081A0: 68920F06
	v_readlane_b32 s82, v3, 24                                 // 0000000081A4: D2890052 00013103
	s_lshr_b32 s61, s82, 24                                    // 0000000081AC: 8F3D9852
	s_and_b32 s82, s82, 0xffffff                               // 0000000081B0: 8652FF52 00FFFFFF
	s_mul_i32 s82, s82, s71                                    // 0000000081B8: 92524752
	s_mul_i32 s61, s60, s61                                    // 0000000081BC: 923D3D3C
	s_add_u32 s82, s82, s61                                    // 0000000081C0: 80523D52
	v_mul_lo_u32 v6, v5, s82                                   // 0000000081C4: D2850006 0000A505
	v_readlane_b32 s82, v3, 25                                 // 0000000081CC: D2890052 00013303
	s_lshr_b32 s61, s82, 24                                    // 0000000081D4: 8F3D9852
	s_and_b32 s82, s82, 0xffffff                               // 0000000081D8: 8652FF52 00FFFFFF
	s_mul_i32 s82, s82, s71                                    // 0000000081E0: 92524752
	s_mul_i32 s61, s60, s61                                    // 0000000081E4: 923D3D3C
	s_add_u32 s82, s82, s61                                    // 0000000081E8: 80523D52
	v_mul_lo_u32 v7, v4, s82                                   // 0000000081EC: D2850007 0000A504
	v_add_u32_e32 v74, v6, v7                                  // 0000000081F4: 68940F06
	v_readlane_b32 s82, v3, 26                                 // 0000000081F8: D2890052 00013503
	s_lshr_b32 s61, s82, 24                                    // 000000008200: 8F3D9852
	s_and_b32 s82, s82, 0xffffff                               // 000000008204: 8652FF52 00FFFFFF
	s_mul_i32 s82, s82, s71                                    // 00000000820C: 92524752
	s_mul_i32 s61, s60, s61                                    // 000000008210: 923D3D3C
	s_add_u32 s82, s82, s61                                    // 000000008214: 80523D52
	v_mul_lo_u32 v6, v5, s82                                   // 000000008218: D2850006 0000A505
	v_readlane_b32 s82, v3, 27                                 // 000000008220: D2890052 00013703
	s_lshr_b32 s61, s82, 24                                    // 000000008228: 8F3D9852
	s_and_b32 s82, s82, 0xffffff                               // 00000000822C: 8652FF52 00FFFFFF
	s_mul_i32 s82, s82, s71                                    // 000000008234: 92524752
	s_mul_i32 s61, s60, s61                                    // 000000008238: 923D3D3C
	s_add_u32 s82, s82, s61                                    // 00000000823C: 80523D52
	v_mul_lo_u32 v7, v4, s82                                   // 000000008240: D2850007 0000A504
	v_add_u32_e32 v75, v6, v7                                  // 000000008248: 68960F06
	v_readlane_b32 s82, v3, 28                                 // 00000000824C: D2890052 00013903
	s_lshr_b32 s61, s82, 24                                    // 000000008254: 8F3D9852
	s_and_b32 s82, s82, 0xffffff                               // 000000008258: 8652FF52 00FFFFFF
	s_mul_i32 s82, s82, s71                                    // 000000008260: 92524752
	s_mul_i32 s61, s60, s61                                    // 000000008264: 923D3D3C
	s_add_u32 s82, s82, s61                                    // 000000008268: 80523D52
	v_mul_lo_u32 v6, v5, s82                                   // 00000000826C: D2850006 0000A505
	v_readlane_b32 s82, v3, 29                                 // 000000008274: D2890052 00013B03
	s_lshr_b32 s61, s82, 24                                    // 00000000827C: 8F3D9852
	s_and_b32 s82, s82, 0xffffff                               // 000000008280: 8652FF52 00FFFFFF
	s_mul_i32 s82, s82, s71                                    // 000000008288: 92524752
	s_mul_i32 s61, s60, s61                                    // 00000000828C: 923D3D3C
	s_add_u32 s82, s82, s61                                    // 000000008290: 80523D52
	v_mul_lo_u32 v7, v4, s82                                   // 000000008294: D2850007 0000A504
	v_add_u32_e32 v76, v6, v7                                  // 00000000829C: 68980F06
	v_readlane_b32 s82, v3, 30                                 // 0000000082A0: D2890052 00013D03
	s_lshr_b32 s61, s82, 24                                    // 0000000082A8: 8F3D9852
	s_and_b32 s82, s82, 0xffffff                               // 0000000082AC: 8652FF52 00FFFFFF
	s_mul_i32 s82, s82, s71                                    // 0000000082B4: 92524752
	s_mul_i32 s61, s60, s61                                    // 0000000082B8: 923D3D3C
	s_add_u32 s82, s82, s61                                    // 0000000082BC: 80523D52
	v_mul_lo_u32 v6, v5, s82                                   // 0000000082C0: D2850006 0000A505
	v_readlane_b32 s82, v3, 31                                 // 0000000082C8: D2890052 00013F03
	s_lshr_b32 s61, s82, 24                                    // 0000000082D0: 8F3D9852
	s_and_b32 s82, s82, 0xffffff                               // 0000000082D4: 8652FF52 00FFFFFF
	s_mul_i32 s82, s82, s71                                    // 0000000082DC: 92524752
	s_mul_i32 s61, s60, s61                                    // 0000000082E0: 923D3D3C
	s_add_u32 s82, s82, s61                                    // 0000000082E4: 80523D52
	v_mul_lo_u32 v7, v4, s82                                   // 0000000082E8: D2850007 0000A504
	v_add_u32_e32 v77, v6, v7                                  // 0000000082F0: 689A0F06
	v_and_b32_e32 v4, 31, v0                                   // 0000000082F4: 2608009F
	v_lshrrev_b32_e32 v4, 1, v4                                // 0000000082F8: 20080881
	s_cmp_eq_u32 s88, 0                                        // 0000000082FC: BF068058
	s_cselect_b32 s61, 2, 4                                    // 000000008300: 853D8482
	v_mul_lo_u32 v4, v4, s61                                   // 000000008304: D2850004 00007B04
	v_and_b32_e64 v5, v0, 1                                    // 00000000830C: D1130005 00010300
	v_add_u32_e32 v4, v4, v5                                   // 000000008314: 68080B04
	v_lshlrev_b32_e32 v4, 2, v4                                // 000000008318: 24080882
	v_add_u32_e32 v62, v62, v4                                 // 00000000831C: 687C093E
	v_add_u32_e32 v63, v63, v4                                 // 000000008320: 687E093F
	v_add_u32_e32 v64, v64, v4                                 // 000000008324: 68800940
	v_add_u32_e32 v65, v65, v4                                 // 000000008328: 68820941
	v_add_u32_e32 v66, v66, v4                                 // 00000000832C: 68840942
	v_add_u32_e32 v67, v67, v4                                 // 000000008330: 68860943
	v_add_u32_e32 v68, v68, v4                                 // 000000008334: 68880944
	v_add_u32_e32 v69, v69, v4                                 // 000000008338: 688A0945
	v_add_u32_e32 v70, v70, v4                                 // 00000000833C: 688C0946
	v_add_u32_e32 v71, v71, v4                                 // 000000008340: 688E0947
	v_add_u32_e32 v72, v72, v4                                 // 000000008344: 68900948
	v_add_u32_e32 v73, v73, v4                                 // 000000008348: 68920949
	v_add_u32_e32 v74, v74, v4                                 // 00000000834C: 6894094A
	v_add_u32_e32 v75, v75, v4                                 // 000000008350: 6896094B
	v_add_u32_e32 v76, v76, v4                                 // 000000008354: 6898094C
	v_add_u32_e32 v77, v77, v4                                 // 000000008358: 689A094D
	s_waitcnt lgkmcnt(0)                                       // 00000000835C: BF8CC07F
	s_barrier                                                  // 000000008360: BF8A0000
	ds_read_b32 v80, v21                                       // 000000008364: D86C0000 50000015
	ds_read_b32 v81, v21 offset:64                             // 00000000836C: D86C0040 51000015
	ds_read_b32 v82, v21 offset:2176                           // 000000008374: D86C0880 52000015
	ds_read_b32 v83, v21 offset:2240                           // 00000000837C: D86C08C0 53000015
	ds_read_b32 v84, v21 offset:4352                           // 000000008384: D86C1100 54000015
	ds_read_b32 v85, v21 offset:4416                           // 00000000838C: D86C1140 55000015
	ds_read_b32 v86, v21 offset:6528                           // 000000008394: D86C1980 56000015
	ds_read_b32 v87, v21 offset:6592                           // 00000000839C: D86C19C0 57000015
	ds_read_b32 v88, v21 offset:8704                           // 0000000083A4: D86C2200 58000015
	ds_read_b32 v89, v21 offset:8768                           // 0000000083AC: D86C2240 59000015
	ds_read_b32 v90, v21 offset:10880                          // 0000000083B4: D86C2A80 5A000015
	ds_read_b32 v91, v21 offset:10944                          // 0000000083BC: D86C2AC0 5B000015
	ds_read_b32 v92, v21 offset:13056                          // 0000000083C4: D86C3300 5C000015
	ds_read_b32 v93, v21 offset:13120                          // 0000000083CC: D86C3340 5D000015
	ds_read_b32 v94, v21 offset:15232                          // 0000000083D4: D86C3B80 5E000015
	ds_read_b32 v95, v21 offset:15296                          // 0000000083DC: D86C3BC0 5F000015
	ds_read_b32 v96, v21 offset:17408                          // 0000000083E4: D86C4400 60000015
	ds_read_b32 v97, v21 offset:17472                          // 0000000083EC: D86C4440 61000015
	ds_read_b32 v98, v21 offset:19584                          // 0000000083F4: D86C4C80 62000015
	ds_read_b32 v99, v21 offset:19648                          // 0000000083FC: D86C4CC0 63000015
	ds_read_b32 v100, v21 offset:21760                         // 000000008404: D86C5500 64000015
	ds_read_b32 v101, v21 offset:21824                         // 00000000840C: D86C5540 65000015
	ds_read_b32 v102, v21 offset:23936                         // 000000008414: D86C5D80 66000015
	ds_read_b32 v103, v21 offset:24000                         // 00000000841C: D86C5DC0 67000015
	ds_read_b32 v104, v21 offset:26112                         // 000000008424: D86C6600 68000015
	ds_read_b32 v105, v21 offset:26176                         // 00000000842C: D86C6640 69000015
	ds_read_b32 v106, v21 offset:28288                         // 000000008434: D86C6E80 6A000015
	ds_read_b32 v107, v21 offset:28352                         // 00000000843C: D86C6EC0 6B000015
	ds_read_b32 v108, v21 offset:30464                         // 000000008444: D86C7700 6C000015
	ds_read_b32 v109, v21 offset:30528                         // 00000000844C: D86C7740 6D000015
	ds_read_b32 v110, v21 offset:32640                         // 000000008454: D86C7F80 6E000015
	ds_read_b32 v111, v21 offset:32704                         // 00000000845C: D86C7FC0 6F000015
	s_waitcnt lgkmcnt(0)                                       // 000000008464: BF8CC07F
	s_mov_b32 s36, -1                                          // 000000008468: BEA400C1
	s_mov_b32 s37, -1                                          // 00000000846C: BEA500C1
	v_mov_b32_e32 v7, 0                                        // 000000008470: 7E0E0280
	s_or_b32 s9, s9, 0x40000                                   // 000000008474: 8709FF09 00040000
	s_mov_b64 exec, s[36:37]                                   // 00000000847C: BEFE0124
	v_mov_b32_e32 v6, v62                                      // 000000008480: 7E0C033E
	s_mov_b64 s[60:61], 0                                      // 000000008484: BEBC0180
	v_readlane_b32 s82, v3, 0                                  // 000000008488: D2890052 00010103
	s_and_b32 s82, s82, 0xffffff                               // 000000008490: 8652FF52 00FFFFFF
	s_cmp_lt_u32 s82, s66                                      // 000000008498: BF0A4252
	s_cselect_b32 s20, s36, s60                                // 00000000849C: 85143C24
	v_readlane_b32 s82, v3, 1                                  // 0000000084A0: D2890052 00010303
	s_and_b32 s82, s82, 0xffffff                               // 0000000084A8: 8652FF52 00FFFFFF
	s_cmp_lt_u32 s82, s66                                      // 0000000084B0: BF0A4252
	s_cselect_b32 s21, s36, s60                                // 0000000084B4: 85153C24
	s_mov_b64 exec, s[20:21]                                   // 0000000084B8: BEFE0114
	buffer_store_dword v80, v6, s[8:11], 0 offen               // 0000000084BC: E0701000 80025006
	buffer_store_dword v82, v6, s[8:11], 0 offen offset:128    // 0000000084C4: E0701080 80025206
	s_mov_b64 exec, s[36:37]                                   // 0000000084CC: BEFE0124
	v_mov_b32_e32 v6, v63                                      // 0000000084D0: 7E0C033F
	s_mov_b64 s[60:61], 0                                      // 0000000084D4: BEBC0180
	v_readlane_b32 s82, v3, 2                                  // 0000000084D8: D2890052 00010503
	s_and_b32 s82, s82, 0xffffff                               // 0000000084E0: 8652FF52 00FFFFFF
	s_cmp_lt_u32 s82, s66                                      // 0000000084E8: BF0A4252
	s_cselect_b32 s20, s36, s60                                // 0000000084EC: 85143C24
	v_readlane_b32 s82, v3, 3                                  // 0000000084F0: D2890052 00010703
	s_and_b32 s82, s82, 0xffffff                               // 0000000084F8: 8652FF52 00FFFFFF
	s_cmp_lt_u32 s82, s66                                      // 000000008500: BF0A4252
	s_cselect_b32 s21, s36, s60                                // 000000008504: 85153C24
	s_mov_b64 exec, s[20:21]                                   // 000000008508: BEFE0114
	buffer_store_dword v81, v6, s[8:11], 0 offen               // 00000000850C: E0701000 80025106
	buffer_store_dword v83, v6, s[8:11], 0 offen offset:128    // 000000008514: E0701080 80025306
	s_mov_b64 exec, s[36:37]                                   // 00000000851C: BEFE0124
	v_mov_b32_e32 v6, v64                                      // 000000008520: 7E0C0340
	s_mov_b64 s[60:61], 0                                      // 000000008524: BEBC0180
	v_readlane_b32 s82, v3, 4                                  // 000000008528: D2890052 00010903
	s_and_b32 s82, s82, 0xffffff                               // 000000008530: 8652FF52 00FFFFFF
	s_cmp_lt_u32 s82, s66                                      // 000000008538: BF0A4252
	s_cselect_b32 s20, s36, s60                                // 00000000853C: 85143C24
	v_readlane_b32 s82, v3, 5                                  // 000000008540: D2890052 00010B03
	s_and_b32 s82, s82, 0xffffff                               // 000000008548: 8652FF52 00FFFFFF
	s_cmp_lt_u32 s82, s66                                      // 000000008550: BF0A4252
	s_cselect_b32 s21, s36, s60                                // 000000008554: 85153C24
	s_mov_b64 exec, s[20:21]                                   // 000000008558: BEFE0114
	buffer_store_dword v84, v6, s[8:11], 0 offen               // 00000000855C: E0701000 80025406
	buffer_store_dword v86, v6, s[8:11], 0 offen offset:128    // 000000008564: E0701080 80025606
	s_mov_b64 exec, s[36:37]                                   // 00000000856C: BEFE0124
	v_mov_b32_e32 v6, v65                                      // 000000008570: 7E0C0341
	s_mov_b64 s[60:61], 0                                      // 000000008574: BEBC0180
	v_readlane_b32 s82, v3, 6                                  // 000000008578: D2890052 00010D03
	s_and_b32 s82, s82, 0xffffff                               // 000000008580: 8652FF52 00FFFFFF
	s_cmp_lt_u32 s82, s66                                      // 000000008588: BF0A4252
	s_cselect_b32 s20, s36, s60                                // 00000000858C: 85143C24
	v_readlane_b32 s82, v3, 7                                  // 000000008590: D2890052 00010F03
	s_and_b32 s82, s82, 0xffffff                               // 000000008598: 8652FF52 00FFFFFF
	s_cmp_lt_u32 s82, s66                                      // 0000000085A0: BF0A4252
	s_cselect_b32 s21, s36, s60                                // 0000000085A4: 85153C24
	s_mov_b64 exec, s[20:21]                                   // 0000000085A8: BEFE0114
	buffer_store_dword v85, v6, s[8:11], 0 offen               // 0000000085AC: E0701000 80025506
	buffer_store_dword v87, v6, s[8:11], 0 offen offset:128    // 0000000085B4: E0701080 80025706
	s_mov_b64 exec, s[36:37]                                   // 0000000085BC: BEFE0124
	v_mov_b32_e32 v6, v66                                      // 0000000085C0: 7E0C0342
	s_mov_b64 s[60:61], 0                                      // 0000000085C4: BEBC0180
	v_readlane_b32 s82, v3, 8                                  // 0000000085C8: D2890052 00011103
	s_and_b32 s82, s82, 0xffffff                               // 0000000085D0: 8652FF52 00FFFFFF
	s_cmp_lt_u32 s82, s66                                      // 0000000085D8: BF0A4252
	s_cselect_b32 s20, s36, s60                                // 0000000085DC: 85143C24
	v_readlane_b32 s82, v3, 9                                  // 0000000085E0: D2890052 00011303
	s_and_b32 s82, s82, 0xffffff                               // 0000000085E8: 8652FF52 00FFFFFF
	s_cmp_lt_u32 s82, s66                                      // 0000000085F0: BF0A4252
	s_cselect_b32 s21, s36, s60                                // 0000000085F4: 85153C24
	s_mov_b64 exec, s[20:21]                                   // 0000000085F8: BEFE0114
	buffer_store_dword v88, v6, s[8:11], 0 offen               // 0000000085FC: E0701000 80025806
	buffer_store_dword v90, v6, s[8:11], 0 offen offset:128    // 000000008604: E0701080 80025A06
	s_mov_b64 exec, s[36:37]                                   // 00000000860C: BEFE0124
	v_mov_b32_e32 v6, v67                                      // 000000008610: 7E0C0343
	s_mov_b64 s[60:61], 0                                      // 000000008614: BEBC0180
	v_readlane_b32 s82, v3, 10                                 // 000000008618: D2890052 00011503
	s_and_b32 s82, s82, 0xffffff                               // 000000008620: 8652FF52 00FFFFFF
	s_cmp_lt_u32 s82, s66                                      // 000000008628: BF0A4252
	s_cselect_b32 s20, s36, s60                                // 00000000862C: 85143C24
	v_readlane_b32 s82, v3, 11                                 // 000000008630: D2890052 00011703
	s_and_b32 s82, s82, 0xffffff                               // 000000008638: 8652FF52 00FFFFFF
	s_cmp_lt_u32 s82, s66                                      // 000000008640: BF0A4252
	s_cselect_b32 s21, s36, s60                                // 000000008644: 85153C24
	s_mov_b64 exec, s[20:21]                                   // 000000008648: BEFE0114
	buffer_store_dword v89, v6, s[8:11], 0 offen               // 00000000864C: E0701000 80025906
	buffer_store_dword v91, v6, s[8:11], 0 offen offset:128    // 000000008654: E0701080 80025B06
	s_mov_b64 exec, s[36:37]                                   // 00000000865C: BEFE0124
	v_mov_b32_e32 v6, v68                                      // 000000008660: 7E0C0344
	s_mov_b64 s[60:61], 0                                      // 000000008664: BEBC0180
	v_readlane_b32 s82, v3, 12                                 // 000000008668: D2890052 00011903
	s_and_b32 s82, s82, 0xffffff                               // 000000008670: 8652FF52 00FFFFFF
	s_cmp_lt_u32 s82, s66                                      // 000000008678: BF0A4252
	s_cselect_b32 s20, s36, s60                                // 00000000867C: 85143C24
	v_readlane_b32 s82, v3, 13                                 // 000000008680: D2890052 00011B03
	s_and_b32 s82, s82, 0xffffff                               // 000000008688: 8652FF52 00FFFFFF
	s_cmp_lt_u32 s82, s66                                      // 000000008690: BF0A4252
	s_cselect_b32 s21, s36, s60                                // 000000008694: 85153C24
	s_mov_b64 exec, s[20:21]                                   // 000000008698: BEFE0114
	buffer_store_dword v92, v6, s[8:11], 0 offen               // 00000000869C: E0701000 80025C06
	buffer_store_dword v94, v6, s[8:11], 0 offen offset:128    // 0000000086A4: E0701080 80025E06
	s_mov_b64 exec, s[36:37]                                   // 0000000086AC: BEFE0124
	v_mov_b32_e32 v6, v69                                      // 0000000086B0: 7E0C0345
	s_mov_b64 s[60:61], 0                                      // 0000000086B4: BEBC0180
	v_readlane_b32 s82, v3, 14                                 // 0000000086B8: D2890052 00011D03
	s_and_b32 s82, s82, 0xffffff                               // 0000000086C0: 8652FF52 00FFFFFF
	s_cmp_lt_u32 s82, s66                                      // 0000000086C8: BF0A4252
	s_cselect_b32 s20, s36, s60                                // 0000000086CC: 85143C24
	v_readlane_b32 s82, v3, 15                                 // 0000000086D0: D2890052 00011F03
	s_and_b32 s82, s82, 0xffffff                               // 0000000086D8: 8652FF52 00FFFFFF
	s_cmp_lt_u32 s82, s66                                      // 0000000086E0: BF0A4252
	s_cselect_b32 s21, s36, s60                                // 0000000086E4: 85153C24
	s_mov_b64 exec, s[20:21]                                   // 0000000086E8: BEFE0114
	buffer_store_dword v93, v6, s[8:11], 0 offen               // 0000000086EC: E0701000 80025D06
	buffer_store_dword v95, v6, s[8:11], 0 offen offset:128    // 0000000086F4: E0701080 80025F06
	s_mov_b64 exec, s[36:37]                                   // 0000000086FC: BEFE0124
	v_mov_b32_e32 v6, v70                                      // 000000008700: 7E0C0346
	s_mov_b64 s[60:61], 0                                      // 000000008704: BEBC0180
	v_readlane_b32 s82, v3, 16                                 // 000000008708: D2890052 00012103
	s_and_b32 s82, s82, 0xffffff                               // 000000008710: 8652FF52 00FFFFFF
	s_cmp_lt_u32 s82, s66                                      // 000000008718: BF0A4252
	s_cselect_b32 s20, s36, s60                                // 00000000871C: 85143C24
	v_readlane_b32 s82, v3, 17                                 // 000000008720: D2890052 00012303
	s_and_b32 s82, s82, 0xffffff                               // 000000008728: 8652FF52 00FFFFFF
	s_cmp_lt_u32 s82, s66                                      // 000000008730: BF0A4252
	s_cselect_b32 s21, s36, s60                                // 000000008734: 85153C24
	s_mov_b64 exec, s[20:21]                                   // 000000008738: BEFE0114
	buffer_store_dword v96, v6, s[8:11], 0 offen               // 00000000873C: E0701000 80026006
	buffer_store_dword v98, v6, s[8:11], 0 offen offset:128    // 000000008744: E0701080 80026206
	s_mov_b64 exec, s[36:37]                                   // 00000000874C: BEFE0124
	v_mov_b32_e32 v6, v71                                      // 000000008750: 7E0C0347
	s_mov_b64 s[60:61], 0                                      // 000000008754: BEBC0180
	v_readlane_b32 s82, v3, 18                                 // 000000008758: D2890052 00012503
	s_and_b32 s82, s82, 0xffffff                               // 000000008760: 8652FF52 00FFFFFF
	s_cmp_lt_u32 s82, s66                                      // 000000008768: BF0A4252
	s_cselect_b32 s20, s36, s60                                // 00000000876C: 85143C24
	v_readlane_b32 s82, v3, 19                                 // 000000008770: D2890052 00012703
	s_and_b32 s82, s82, 0xffffff                               // 000000008778: 8652FF52 00FFFFFF
	s_cmp_lt_u32 s82, s66                                      // 000000008780: BF0A4252
	s_cselect_b32 s21, s36, s60                                // 000000008784: 85153C24
	s_mov_b64 exec, s[20:21]                                   // 000000008788: BEFE0114
	buffer_store_dword v97, v6, s[8:11], 0 offen               // 00000000878C: E0701000 80026106
	buffer_store_dword v99, v6, s[8:11], 0 offen offset:128    // 000000008794: E0701080 80026306
	s_mov_b64 exec, s[36:37]                                   // 00000000879C: BEFE0124
	v_mov_b32_e32 v6, v72                                      // 0000000087A0: 7E0C0348
	s_mov_b64 s[60:61], 0                                      // 0000000087A4: BEBC0180
	v_readlane_b32 s82, v3, 20                                 // 0000000087A8: D2890052 00012903
	s_and_b32 s82, s82, 0xffffff                               // 0000000087B0: 8652FF52 00FFFFFF
	s_cmp_lt_u32 s82, s66                                      // 0000000087B8: BF0A4252
	s_cselect_b32 s20, s36, s60                                // 0000000087BC: 85143C24
	v_readlane_b32 s82, v3, 21                                 // 0000000087C0: D2890052 00012B03
	s_and_b32 s82, s82, 0xffffff                               // 0000000087C8: 8652FF52 00FFFFFF
	s_cmp_lt_u32 s82, s66                                      // 0000000087D0: BF0A4252
	s_cselect_b32 s21, s36, s60                                // 0000000087D4: 85153C24
	s_mov_b64 exec, s[20:21]                                   // 0000000087D8: BEFE0114
	buffer_store_dword v100, v6, s[8:11], 0 offen              // 0000000087DC: E0701000 80026406
	buffer_store_dword v102, v6, s[8:11], 0 offen offset:128   // 0000000087E4: E0701080 80026606
	s_mov_b64 exec, s[36:37]                                   // 0000000087EC: BEFE0124
	v_mov_b32_e32 v6, v73                                      // 0000000087F0: 7E0C0349
	s_mov_b64 s[60:61], 0                                      // 0000000087F4: BEBC0180
	v_readlane_b32 s82, v3, 22                                 // 0000000087F8: D2890052 00012D03
	s_and_b32 s82, s82, 0xffffff                               // 000000008800: 8652FF52 00FFFFFF
	s_cmp_lt_u32 s82, s66                                      // 000000008808: BF0A4252
	s_cselect_b32 s20, s36, s60                                // 00000000880C: 85143C24
	v_readlane_b32 s82, v3, 23                                 // 000000008810: D2890052 00012F03
	s_and_b32 s82, s82, 0xffffff                               // 000000008818: 8652FF52 00FFFFFF
	s_cmp_lt_u32 s82, s66                                      // 000000008820: BF0A4252
	s_cselect_b32 s21, s36, s60                                // 000000008824: 85153C24
	s_mov_b64 exec, s[20:21]                                   // 000000008828: BEFE0114
	buffer_store_dword v101, v6, s[8:11], 0 offen              // 00000000882C: E0701000 80026506
	buffer_store_dword v103, v6, s[8:11], 0 offen offset:128   // 000000008834: E0701080 80026706
	s_mov_b64 exec, s[36:37]                                   // 00000000883C: BEFE0124
	v_mov_b32_e32 v6, v74                                      // 000000008840: 7E0C034A
	s_mov_b64 s[60:61], 0                                      // 000000008844: BEBC0180
	v_readlane_b32 s82, v3, 24                                 // 000000008848: D2890052 00013103
	s_and_b32 s82, s82, 0xffffff                               // 000000008850: 8652FF52 00FFFFFF
	s_cmp_lt_u32 s82, s66                                      // 000000008858: BF0A4252
	s_cselect_b32 s20, s36, s60                                // 00000000885C: 85143C24
	v_readlane_b32 s82, v3, 25                                 // 000000008860: D2890052 00013303
	s_and_b32 s82, s82, 0xffffff                               // 000000008868: 8652FF52 00FFFFFF
	s_cmp_lt_u32 s82, s66                                      // 000000008870: BF0A4252
	s_cselect_b32 s21, s36, s60                                // 000000008874: 85153C24
	s_mov_b64 exec, s[20:21]                                   // 000000008878: BEFE0114
	buffer_store_dword v104, v6, s[8:11], 0 offen              // 00000000887C: E0701000 80026806
	buffer_store_dword v106, v6, s[8:11], 0 offen offset:128   // 000000008884: E0701080 80026A06
	s_mov_b64 exec, s[36:37]                                   // 00000000888C: BEFE0124
	v_mov_b32_e32 v6, v75                                      // 000000008890: 7E0C034B
	s_mov_b64 s[60:61], 0                                      // 000000008894: BEBC0180
	v_readlane_b32 s82, v3, 26                                 // 000000008898: D2890052 00013503
	s_and_b32 s82, s82, 0xffffff                               // 0000000088A0: 8652FF52 00FFFFFF
	s_cmp_lt_u32 s82, s66                                      // 0000000088A8: BF0A4252
	s_cselect_b32 s20, s36, s60                                // 0000000088AC: 85143C24
	v_readlane_b32 s82, v3, 27                                 // 0000000088B0: D2890052 00013703
	s_and_b32 s82, s82, 0xffffff                               // 0000000088B8: 8652FF52 00FFFFFF
	s_cmp_lt_u32 s82, s66                                      // 0000000088C0: BF0A4252
	s_cselect_b32 s21, s36, s60                                // 0000000088C4: 85153C24
	s_mov_b64 exec, s[20:21]                                   // 0000000088C8: BEFE0114
	buffer_store_dword v105, v6, s[8:11], 0 offen              // 0000000088CC: E0701000 80026906
	buffer_store_dword v107, v6, s[8:11], 0 offen offset:128   // 0000000088D4: E0701080 80026B06
	s_mov_b64 exec, s[36:37]                                   // 0000000088DC: BEFE0124
	v_mov_b32_e32 v6, v76                                      // 0000000088E0: 7E0C034C
	s_mov_b64 s[60:61], 0                                      // 0000000088E4: BEBC0180
	v_readlane_b32 s82, v3, 28                                 // 0000000088E8: D2890052 00013903
	s_and_b32 s82, s82, 0xffffff                               // 0000000088F0: 8652FF52 00FFFFFF
	s_cmp_lt_u32 s82, s66                                      // 0000000088F8: BF0A4252
	s_cselect_b32 s20, s36, s60                                // 0000000088FC: 85143C24
	v_readlane_b32 s82, v3, 29                                 // 000000008900: D2890052 00013B03
	s_and_b32 s82, s82, 0xffffff                               // 000000008908: 8652FF52 00FFFFFF
	s_cmp_lt_u32 s82, s66                                      // 000000008910: BF0A4252
	s_cselect_b32 s21, s36, s60                                // 000000008914: 85153C24
	s_mov_b64 exec, s[20:21]                                   // 000000008918: BEFE0114
	buffer_store_dword v108, v6, s[8:11], 0 offen              // 00000000891C: E0701000 80026C06
	buffer_store_dword v110, v6, s[8:11], 0 offen offset:128   // 000000008924: E0701080 80026E06
	s_mov_b64 exec, s[36:37]                                   // 00000000892C: BEFE0124
	v_mov_b32_e32 v6, v77                                      // 000000008930: 7E0C034D
	s_mov_b64 s[60:61], 0                                      // 000000008934: BEBC0180
	v_readlane_b32 s82, v3, 30                                 // 000000008938: D2890052 00013D03
	s_and_b32 s82, s82, 0xffffff                               // 000000008940: 8652FF52 00FFFFFF
	s_cmp_lt_u32 s82, s66                                      // 000000008948: BF0A4252
	s_cselect_b32 s20, s36, s60                                // 00000000894C: 85143C24
	v_readlane_b32 s82, v3, 31                                 // 000000008950: D2890052 00013F03
	s_and_b32 s82, s82, 0xffffff                               // 000000008958: 8652FF52 00FFFFFF
	s_cmp_lt_u32 s82, s66                                      // 000000008960: BF0A4252
	s_cselect_b32 s21, s36, s60                                // 000000008964: 85153C24
	s_mov_b64 exec, s[20:21]                                   // 000000008968: BEFE0114
	buffer_store_dword v109, v6, s[8:11], 0 offen              // 00000000896C: E0701000 80026D06
	buffer_store_dword v111, v6, s[8:11], 0 offen offset:128   // 000000008974: E0701080 80026F06
	s_mov_b64 exec, s[36:37]                                   // 00000000897C: BEFE0124
	s_branch label_3C1E                                        // 000000008980: BF82243A

0000000000008984 <label_17E1>:
	ds_write_b64 v20, v[80:81]                                 // 000000008984: D89A0000 00005014
	ds_write_b64 v20, v[84:85] offset:4352                     // 00000000898C: D89A1100 00005414
	ds_write_b64 v20, v[88:89] offset:8704                     // 000000008994: D89A2200 00005814
	ds_write_b64 v20, v[92:93] offset:13056                    // 00000000899C: D89A3300 00005C14
	ds_write_b64 v20, v[96:97] offset:17408                    // 0000000089A4: D89A4400 00006014
	ds_write_b64 v20, v[100:101] offset:21760                  // 0000000089AC: D89A5500 00006414
	ds_write_b64 v20, v[104:105] offset:26112                  // 0000000089B4: D89A6600 00006814
	ds_write_b64 v20, v[108:109] offset:30464                  // 0000000089BC: D89A7700 00006C14
	ds_write_b64 v20, v[112:113] offset:2176                   // 0000000089C4: D89A0880 00007014
	ds_write_b64 v20, v[116:117] offset:6528                   // 0000000089CC: D89A1980 00007414
	ds_write_b64 v20, v[120:121] offset:10880                  // 0000000089D4: D89A2A80 00007814
	ds_write_b64 v20, v[124:125] offset:15232                  // 0000000089DC: D89A3B80 00007C14
	ds_write_b64 v20, v[128:129] offset:19584                  // 0000000089E4: D89A4C80 00008014
	ds_write_b64 v20, v[132:133] offset:23936                  // 0000000089EC: D89A5D80 00008414
	ds_write_b64 v20, v[136:137] offset:28288                  // 0000000089F4: D89A6E80 00008814
	ds_write_b64 v20, v[140:141] offset:32640                  // 0000000089FC: D89A7F80 00008C14
	v_lshrrev_b32_e32 v4, 5, v0                                // 000000008A04: 20080085
	v_xor_b32_e32 v5, 1, v4                                    // 000000008A08: 2A0A0881
	s_mul_i32 s60, s65, 2                                      // 000000008A0C: 923C8241
	s_cmp_eq_u32 s88, 0                                        // 000000008A10: BF068058
	s_cselect_b32 s61, 1, 4                                    // 000000008A14: 853D8481
	s_mul_i32 s60, s61, s60                                    // 000000008A18: 923C3C3D
	v_readlane_b32 s82, v3, 0                                  // 000000008A1C: D2890052 00010103
	s_lshr_b32 s61, s82, 24                                    // 000000008A24: 8F3D9852
	s_and_b32 s82, s82, 0xffffff                               // 000000008A28: 8652FF52 00FFFFFF
	s_mul_i32 s82, s82, s71                                    // 000000008A30: 92524752
	s_mul_i32 s61, s60, s61                                    // 000000008A34: 923D3D3C
	s_add_u32 s82, s82, s61                                    // 000000008A38: 80523D52
	v_mul_lo_u32 v6, v5, s82                                   // 000000008A3C: D2850006 0000A505
	v_readlane_b32 s82, v3, 1                                  // 000000008A44: D2890052 00010303
	s_lshr_b32 s61, s82, 24                                    // 000000008A4C: 8F3D9852
	s_and_b32 s82, s82, 0xffffff                               // 000000008A50: 8652FF52 00FFFFFF
	s_mul_i32 s82, s82, s71                                    // 000000008A58: 92524752
	s_mul_i32 s61, s60, s61                                    // 000000008A5C: 923D3D3C
	s_add_u32 s82, s82, s61                                    // 000000008A60: 80523D52
	v_mul_lo_u32 v7, v4, s82                                   // 000000008A64: D2850007 0000A504
	v_add_u32_e32 v62, v6, v7                                  // 000000008A6C: 687C0F06
	v_readlane_b32 s82, v3, 2                                  // 000000008A70: D2890052 00010503
	s_lshr_b32 s61, s82, 24                                    // 000000008A78: 8F3D9852
	s_and_b32 s82, s82, 0xffffff                               // 000000008A7C: 8652FF52 00FFFFFF
	s_mul_i32 s82, s82, s71                                    // 000000008A84: 92524752
	s_mul_i32 s61, s60, s61                                    // 000000008A88: 923D3D3C
	s_add_u32 s82, s82, s61                                    // 000000008A8C: 80523D52
	v_mul_lo_u32 v6, v5, s82                                   // 000000008A90: D2850006 0000A505
	v_readlane_b32 s82, v3, 3                                  // 000000008A98: D2890052 00010703
	s_lshr_b32 s61, s82, 24                                    // 000000008AA0: 8F3D9852
	s_and_b32 s82, s82, 0xffffff                               // 000000008AA4: 8652FF52 00FFFFFF
	s_mul_i32 s82, s82, s71                                    // 000000008AAC: 92524752
	s_mul_i32 s61, s60, s61                                    // 000000008AB0: 923D3D3C
	s_add_u32 s82, s82, s61                                    // 000000008AB4: 80523D52
	v_mul_lo_u32 v7, v4, s82                                   // 000000008AB8: D2850007 0000A504
	v_add_u32_e32 v63, v6, v7                                  // 000000008AC0: 687E0F06
	v_readlane_b32 s82, v3, 4                                  // 000000008AC4: D2890052 00010903
	s_lshr_b32 s61, s82, 24                                    // 000000008ACC: 8F3D9852
	s_and_b32 s82, s82, 0xffffff                               // 000000008AD0: 8652FF52 00FFFFFF
	s_mul_i32 s82, s82, s71                                    // 000000008AD8: 92524752
	s_mul_i32 s61, s60, s61                                    // 000000008ADC: 923D3D3C
	s_add_u32 s82, s82, s61                                    // 000000008AE0: 80523D52
	v_mul_lo_u32 v6, v5, s82                                   // 000000008AE4: D2850006 0000A505
	v_readlane_b32 s82, v3, 5                                  // 000000008AEC: D2890052 00010B03
	s_lshr_b32 s61, s82, 24                                    // 000000008AF4: 8F3D9852
	s_and_b32 s82, s82, 0xffffff                               // 000000008AF8: 8652FF52 00FFFFFF
	s_mul_i32 s82, s82, s71                                    // 000000008B00: 92524752
	s_mul_i32 s61, s60, s61                                    // 000000008B04: 923D3D3C
	s_add_u32 s82, s82, s61                                    // 000000008B08: 80523D52
	v_mul_lo_u32 v7, v4, s82                                   // 000000008B0C: D2850007 0000A504
	v_add_u32_e32 v64, v6, v7                                  // 000000008B14: 68800F06
	v_readlane_b32 s82, v3, 6                                  // 000000008B18: D2890052 00010D03
	s_lshr_b32 s61, s82, 24                                    // 000000008B20: 8F3D9852
	s_and_b32 s82, s82, 0xffffff                               // 000000008B24: 8652FF52 00FFFFFF
	s_mul_i32 s82, s82, s71                                    // 000000008B2C: 92524752
	s_mul_i32 s61, s60, s61                                    // 000000008B30: 923D3D3C
	s_add_u32 s82, s82, s61                                    // 000000008B34: 80523D52
	v_mul_lo_u32 v6, v5, s82                                   // 000000008B38: D2850006 0000A505
	v_readlane_b32 s82, v3, 7                                  // 000000008B40: D2890052 00010F03
	s_lshr_b32 s61, s82, 24                                    // 000000008B48: 8F3D9852
	s_and_b32 s82, s82, 0xffffff                               // 000000008B4C: 8652FF52 00FFFFFF
	s_mul_i32 s82, s82, s71                                    // 000000008B54: 92524752
	s_mul_i32 s61, s60, s61                                    // 000000008B58: 923D3D3C
	s_add_u32 s82, s82, s61                                    // 000000008B5C: 80523D52
	v_mul_lo_u32 v7, v4, s82                                   // 000000008B60: D2850007 0000A504
	v_add_u32_e32 v65, v6, v7                                  // 000000008B68: 68820F06
	v_readlane_b32 s82, v3, 8                                  // 000000008B6C: D2890052 00011103
	s_lshr_b32 s61, s82, 24                                    // 000000008B74: 8F3D9852
	s_and_b32 s82, s82, 0xffffff                               // 000000008B78: 8652FF52 00FFFFFF
	s_mul_i32 s82, s82, s71                                    // 000000008B80: 92524752
	s_mul_i32 s61, s60, s61                                    // 000000008B84: 923D3D3C
	s_add_u32 s82, s82, s61                                    // 000000008B88: 80523D52
	v_mul_lo_u32 v6, v5, s82                                   // 000000008B8C: D2850006 0000A505
	v_readlane_b32 s82, v3, 9                                  // 000000008B94: D2890052 00011303
	s_lshr_b32 s61, s82, 24                                    // 000000008B9C: 8F3D9852
	s_and_b32 s82, s82, 0xffffff                               // 000000008BA0: 8652FF52 00FFFFFF
	s_mul_i32 s82, s82, s71                                    // 000000008BA8: 92524752
	s_mul_i32 s61, s60, s61                                    // 000000008BAC: 923D3D3C
	s_add_u32 s82, s82, s61                                    // 000000008BB0: 80523D52
	v_mul_lo_u32 v7, v4, s82                                   // 000000008BB4: D2850007 0000A504
	v_add_u32_e32 v66, v6, v7                                  // 000000008BBC: 68840F06
	v_readlane_b32 s82, v3, 10                                 // 000000008BC0: D2890052 00011503
	s_lshr_b32 s61, s82, 24                                    // 000000008BC8: 8F3D9852
	s_and_b32 s82, s82, 0xffffff                               // 000000008BCC: 8652FF52 00FFFFFF
	s_mul_i32 s82, s82, s71                                    // 000000008BD4: 92524752
	s_mul_i32 s61, s60, s61                                    // 000000008BD8: 923D3D3C
	s_add_u32 s82, s82, s61                                    // 000000008BDC: 80523D52
	v_mul_lo_u32 v6, v5, s82                                   // 000000008BE0: D2850006 0000A505
	v_readlane_b32 s82, v3, 11                                 // 000000008BE8: D2890052 00011703
	s_lshr_b32 s61, s82, 24                                    // 000000008BF0: 8F3D9852
	s_and_b32 s82, s82, 0xffffff                               // 000000008BF4: 8652FF52 00FFFFFF
	s_mul_i32 s82, s82, s71                                    // 000000008BFC: 92524752
	s_mul_i32 s61, s60, s61                                    // 000000008C00: 923D3D3C
	s_add_u32 s82, s82, s61                                    // 000000008C04: 80523D52
	v_mul_lo_u32 v7, v4, s82                                   // 000000008C08: D2850007 0000A504
	v_add_u32_e32 v67, v6, v7                                  // 000000008C10: 68860F06
	v_readlane_b32 s82, v3, 12                                 // 000000008C14: D2890052 00011903
	s_lshr_b32 s61, s82, 24                                    // 000000008C1C: 8F3D9852
	s_and_b32 s82, s82, 0xffffff                               // 000000008C20: 8652FF52 00FFFFFF
	s_mul_i32 s82, s82, s71                                    // 000000008C28: 92524752
	s_mul_i32 s61, s60, s61                                    // 000000008C2C: 923D3D3C
	s_add_u32 s82, s82, s61                                    // 000000008C30: 80523D52
	v_mul_lo_u32 v6, v5, s82                                   // 000000008C34: D2850006 0000A505
	v_readlane_b32 s82, v3, 13                                 // 000000008C3C: D2890052 00011B03
	s_lshr_b32 s61, s82, 24                                    // 000000008C44: 8F3D9852
	s_and_b32 s82, s82, 0xffffff                               // 000000008C48: 8652FF52 00FFFFFF
	s_mul_i32 s82, s82, s71                                    // 000000008C50: 92524752
	s_mul_i32 s61, s60, s61                                    // 000000008C54: 923D3D3C
	s_add_u32 s82, s82, s61                                    // 000000008C58: 80523D52
	v_mul_lo_u32 v7, v4, s82                                   // 000000008C5C: D2850007 0000A504
	v_add_u32_e32 v68, v6, v7                                  // 000000008C64: 68880F06
	v_readlane_b32 s82, v3, 14                                 // 000000008C68: D2890052 00011D03
	s_lshr_b32 s61, s82, 24                                    // 000000008C70: 8F3D9852
	s_and_b32 s82, s82, 0xffffff                               // 000000008C74: 8652FF52 00FFFFFF
	s_mul_i32 s82, s82, s71                                    // 000000008C7C: 92524752
	s_mul_i32 s61, s60, s61                                    // 000000008C80: 923D3D3C
	s_add_u32 s82, s82, s61                                    // 000000008C84: 80523D52
	v_mul_lo_u32 v6, v5, s82                                   // 000000008C88: D2850006 0000A505
	v_readlane_b32 s82, v3, 15                                 // 000000008C90: D2890052 00011F03
	s_lshr_b32 s61, s82, 24                                    // 000000008C98: 8F3D9852
	s_and_b32 s82, s82, 0xffffff                               // 000000008C9C: 8652FF52 00FFFFFF
	s_mul_i32 s82, s82, s71                                    // 000000008CA4: 92524752
	s_mul_i32 s61, s60, s61                                    // 000000008CA8: 923D3D3C
	s_add_u32 s82, s82, s61                                    // 000000008CAC: 80523D52
	v_mul_lo_u32 v7, v4, s82                                   // 000000008CB0: D2850007 0000A504
	v_add_u32_e32 v69, v6, v7                                  // 000000008CB8: 688A0F06
	v_readlane_b32 s82, v3, 16                                 // 000000008CBC: D2890052 00012103
	s_lshr_b32 s61, s82, 24                                    // 000000008CC4: 8F3D9852
	s_and_b32 s82, s82, 0xffffff                               // 000000008CC8: 8652FF52 00FFFFFF
	s_mul_i32 s82, s82, s71                                    // 000000008CD0: 92524752
	s_mul_i32 s61, s60, s61                                    // 000000008CD4: 923D3D3C
	s_add_u32 s82, s82, s61                                    // 000000008CD8: 80523D52
	v_mul_lo_u32 v6, v5, s82                                   // 000000008CDC: D2850006 0000A505
	v_readlane_b32 s82, v3, 17                                 // 000000008CE4: D2890052 00012303
	s_lshr_b32 s61, s82, 24                                    // 000000008CEC: 8F3D9852
	s_and_b32 s82, s82, 0xffffff                               // 000000008CF0: 8652FF52 00FFFFFF
	s_mul_i32 s82, s82, s71                                    // 000000008CF8: 92524752
	s_mul_i32 s61, s60, s61                                    // 000000008CFC: 923D3D3C
	s_add_u32 s82, s82, s61                                    // 000000008D00: 80523D52
	v_mul_lo_u32 v7, v4, s82                                   // 000000008D04: D2850007 0000A504
	v_add_u32_e32 v70, v6, v7                                  // 000000008D0C: 688C0F06
	v_readlane_b32 s82, v3, 18                                 // 000000008D10: D2890052 00012503
	s_lshr_b32 s61, s82, 24                                    // 000000008D18: 8F3D9852
	s_and_b32 s82, s82, 0xffffff                               // 000000008D1C: 8652FF52 00FFFFFF
	s_mul_i32 s82, s82, s71                                    // 000000008D24: 92524752
	s_mul_i32 s61, s60, s61                                    // 000000008D28: 923D3D3C
	s_add_u32 s82, s82, s61                                    // 000000008D2C: 80523D52
	v_mul_lo_u32 v6, v5, s82                                   // 000000008D30: D2850006 0000A505
	v_readlane_b32 s82, v3, 19                                 // 000000008D38: D2890052 00012703
	s_lshr_b32 s61, s82, 24                                    // 000000008D40: 8F3D9852
	s_and_b32 s82, s82, 0xffffff                               // 000000008D44: 8652FF52 00FFFFFF
	s_mul_i32 s82, s82, s71                                    // 000000008D4C: 92524752
	s_mul_i32 s61, s60, s61                                    // 000000008D50: 923D3D3C
	s_add_u32 s82, s82, s61                                    // 000000008D54: 80523D52
	v_mul_lo_u32 v7, v4, s82                                   // 000000008D58: D2850007 0000A504
	v_add_u32_e32 v71, v6, v7                                  // 000000008D60: 688E0F06
	v_readlane_b32 s82, v3, 20                                 // 000000008D64: D2890052 00012903
	s_lshr_b32 s61, s82, 24                                    // 000000008D6C: 8F3D9852
	s_and_b32 s82, s82, 0xffffff                               // 000000008D70: 8652FF52 00FFFFFF
	s_mul_i32 s82, s82, s71                                    // 000000008D78: 92524752
	s_mul_i32 s61, s60, s61                                    // 000000008D7C: 923D3D3C
	s_add_u32 s82, s82, s61                                    // 000000008D80: 80523D52
	v_mul_lo_u32 v6, v5, s82                                   // 000000008D84: D2850006 0000A505
	v_readlane_b32 s82, v3, 21                                 // 000000008D8C: D2890052 00012B03
	s_lshr_b32 s61, s82, 24                                    // 000000008D94: 8F3D9852
	s_and_b32 s82, s82, 0xffffff                               // 000000008D98: 8652FF52 00FFFFFF
	s_mul_i32 s82, s82, s71                                    // 000000008DA0: 92524752
	s_mul_i32 s61, s60, s61                                    // 000000008DA4: 923D3D3C
	s_add_u32 s82, s82, s61                                    // 000000008DA8: 80523D52
	v_mul_lo_u32 v7, v4, s82                                   // 000000008DAC: D2850007 0000A504
	v_add_u32_e32 v72, v6, v7                                  // 000000008DB4: 68900F06
	v_readlane_b32 s82, v3, 22                                 // 000000008DB8: D2890052 00012D03
	s_lshr_b32 s61, s82, 24                                    // 000000008DC0: 8F3D9852
	s_and_b32 s82, s82, 0xffffff                               // 000000008DC4: 8652FF52 00FFFFFF
	s_mul_i32 s82, s82, s71                                    // 000000008DCC: 92524752
	s_mul_i32 s61, s60, s61                                    // 000000008DD0: 923D3D3C
	s_add_u32 s82, s82, s61                                    // 000000008DD4: 80523D52
	v_mul_lo_u32 v6, v5, s82                                   // 000000008DD8: D2850006 0000A505
	v_readlane_b32 s82, v3, 23                                 // 000000008DE0: D2890052 00012F03
	s_lshr_b32 s61, s82, 24                                    // 000000008DE8: 8F3D9852
	s_and_b32 s82, s82, 0xffffff                               // 000000008DEC: 8652FF52 00FFFFFF
	s_mul_i32 s82, s82, s71                                    // 000000008DF4: 92524752
	s_mul_i32 s61, s60, s61                                    // 000000008DF8: 923D3D3C
	s_add_u32 s82, s82, s61                                    // 000000008DFC: 80523D52
	v_mul_lo_u32 v7, v4, s82                                   // 000000008E00: D2850007 0000A504
	v_add_u32_e32 v73, v6, v7                                  // 000000008E08: 68920F06
	v_readlane_b32 s82, v3, 24                                 // 000000008E0C: D2890052 00013103
	s_lshr_b32 s61, s82, 24                                    // 000000008E14: 8F3D9852
	s_and_b32 s82, s82, 0xffffff                               // 000000008E18: 8652FF52 00FFFFFF
	s_mul_i32 s82, s82, s71                                    // 000000008E20: 92524752
	s_mul_i32 s61, s60, s61                                    // 000000008E24: 923D3D3C
	s_add_u32 s82, s82, s61                                    // 000000008E28: 80523D52
	v_mul_lo_u32 v6, v5, s82                                   // 000000008E2C: D2850006 0000A505
	v_readlane_b32 s82, v3, 25                                 // 000000008E34: D2890052 00013303
	s_lshr_b32 s61, s82, 24                                    // 000000008E3C: 8F3D9852
	s_and_b32 s82, s82, 0xffffff                               // 000000008E40: 8652FF52 00FFFFFF
	s_mul_i32 s82, s82, s71                                    // 000000008E48: 92524752
	s_mul_i32 s61, s60, s61                                    // 000000008E4C: 923D3D3C
	s_add_u32 s82, s82, s61                                    // 000000008E50: 80523D52
	v_mul_lo_u32 v7, v4, s82                                   // 000000008E54: D2850007 0000A504
	v_add_u32_e32 v74, v6, v7                                  // 000000008E5C: 68940F06
	v_readlane_b32 s82, v3, 26                                 // 000000008E60: D2890052 00013503
	s_lshr_b32 s61, s82, 24                                    // 000000008E68: 8F3D9852
	s_and_b32 s82, s82, 0xffffff                               // 000000008E6C: 8652FF52 00FFFFFF
	s_mul_i32 s82, s82, s71                                    // 000000008E74: 92524752
	s_mul_i32 s61, s60, s61                                    // 000000008E78: 923D3D3C
	s_add_u32 s82, s82, s61                                    // 000000008E7C: 80523D52
	v_mul_lo_u32 v6, v5, s82                                   // 000000008E80: D2850006 0000A505
	v_readlane_b32 s82, v3, 27                                 // 000000008E88: D2890052 00013703
	s_lshr_b32 s61, s82, 24                                    // 000000008E90: 8F3D9852
	s_and_b32 s82, s82, 0xffffff                               // 000000008E94: 8652FF52 00FFFFFF
	s_mul_i32 s82, s82, s71                                    // 000000008E9C: 92524752
	s_mul_i32 s61, s60, s61                                    // 000000008EA0: 923D3D3C
	s_add_u32 s82, s82, s61                                    // 000000008EA4: 80523D52
	v_mul_lo_u32 v7, v4, s82                                   // 000000008EA8: D2850007 0000A504
	v_add_u32_e32 v75, v6, v7                                  // 000000008EB0: 68960F06
	v_readlane_b32 s82, v3, 28                                 // 000000008EB4: D2890052 00013903
	s_lshr_b32 s61, s82, 24                                    // 000000008EBC: 8F3D9852
	s_and_b32 s82, s82, 0xffffff                               // 000000008EC0: 8652FF52 00FFFFFF
	s_mul_i32 s82, s82, s71                                    // 000000008EC8: 92524752
	s_mul_i32 s61, s60, s61                                    // 000000008ECC: 923D3D3C
	s_add_u32 s82, s82, s61                                    // 000000008ED0: 80523D52
	v_mul_lo_u32 v6, v5, s82                                   // 000000008ED4: D2850006 0000A505
	v_readlane_b32 s82, v3, 29                                 // 000000008EDC: D2890052 00013B03
	s_lshr_b32 s61, s82, 24                                    // 000000008EE4: 8F3D9852
	s_and_b32 s82, s82, 0xffffff                               // 000000008EE8: 8652FF52 00FFFFFF
	s_mul_i32 s82, s82, s71                                    // 000000008EF0: 92524752
	s_mul_i32 s61, s60, s61                                    // 000000008EF4: 923D3D3C
	s_add_u32 s82, s82, s61                                    // 000000008EF8: 80523D52
	v_mul_lo_u32 v7, v4, s82                                   // 000000008EFC: D2850007 0000A504
	v_add_u32_e32 v76, v6, v7                                  // 000000008F04: 68980F06
	v_readlane_b32 s82, v3, 30                                 // 000000008F08: D2890052 00013D03
	s_lshr_b32 s61, s82, 24                                    // 000000008F10: 8F3D9852
	s_and_b32 s82, s82, 0xffffff                               // 000000008F14: 8652FF52 00FFFFFF
	s_mul_i32 s82, s82, s71                                    // 000000008F1C: 92524752
	s_mul_i32 s61, s60, s61                                    // 000000008F20: 923D3D3C
	s_add_u32 s82, s82, s61                                    // 000000008F24: 80523D52
	v_mul_lo_u32 v6, v5, s82                                   // 000000008F28: D2850006 0000A505
	v_readlane_b32 s82, v3, 31                                 // 000000008F30: D2890052 00013F03
	s_lshr_b32 s61, s82, 24                                    // 000000008F38: 8F3D9852
	s_and_b32 s82, s82, 0xffffff                               // 000000008F3C: 8652FF52 00FFFFFF
	s_mul_i32 s82, s82, s71                                    // 000000008F44: 92524752
	s_mul_i32 s61, s60, s61                                    // 000000008F48: 923D3D3C
	s_add_u32 s82, s82, s61                                    // 000000008F4C: 80523D52
	v_mul_lo_u32 v7, v4, s82                                   // 000000008F50: D2850007 0000A504
	v_add_u32_e32 v77, v6, v7                                  // 000000008F58: 689A0F06
	v_and_b32_e32 v4, 31, v0                                   // 000000008F5C: 2608009F
	v_lshrrev_b32_e32 v4, 1, v4                                // 000000008F60: 20080881
	s_cmp_eq_u32 s88, 0                                        // 000000008F64: BF068058
	s_cselect_b32 s61, 2, 4                                    // 000000008F68: 853D8482
	v_mul_lo_u32 v4, v4, s61                                   // 000000008F6C: D2850004 00007B04
	v_and_b32_e64 v5, v0, 1                                    // 000000008F74: D1130005 00010300
	v_add_u32_e32 v4, v4, v5                                   // 000000008F7C: 68080B04
	v_lshlrev_b32_e32 v4, 2, v4                                // 000000008F80: 24080882
	v_add_u32_e32 v62, v62, v4                                 // 000000008F84: 687C093E
	v_add_u32_e32 v63, v63, v4                                 // 000000008F88: 687E093F
	v_add_u32_e32 v64, v64, v4                                 // 000000008F8C: 68800940
	v_add_u32_e32 v65, v65, v4                                 // 000000008F90: 68820941
	v_add_u32_e32 v66, v66, v4                                 // 000000008F94: 68840942
	v_add_u32_e32 v67, v67, v4                                 // 000000008F98: 68860943
	v_add_u32_e32 v68, v68, v4                                 // 000000008F9C: 68880944
	v_add_u32_e32 v69, v69, v4                                 // 000000008FA0: 688A0945
	v_add_u32_e32 v70, v70, v4                                 // 000000008FA4: 688C0946
	v_add_u32_e32 v71, v71, v4                                 // 000000008FA8: 688E0947
	v_add_u32_e32 v72, v72, v4                                 // 000000008FAC: 68900948
	v_add_u32_e32 v73, v73, v4                                 // 000000008FB0: 68920949
	v_add_u32_e32 v74, v74, v4                                 // 000000008FB4: 6894094A
	v_add_u32_e32 v75, v75, v4                                 // 000000008FB8: 6896094B
	v_add_u32_e32 v76, v76, v4                                 // 000000008FBC: 6898094C
	v_add_u32_e32 v77, v77, v4                                 // 000000008FC0: 689A094D
	s_waitcnt lgkmcnt(0)                                       // 000000008FC4: BF8CC07F
	s_barrier                                                  // 000000008FC8: BF8A0000
	ds_read_b32 v80, v21                                       // 000000008FCC: D86C0000 50000015
	ds_read_b32 v81, v21 offset:64                             // 000000008FD4: D86C0040 51000015
	ds_read_b32 v84, v21 offset:2176                           // 000000008FDC: D86C0880 54000015
	ds_read_b32 v85, v21 offset:2240                           // 000000008FE4: D86C08C0 55000015
	ds_read_b32 v88, v21 offset:4352                           // 000000008FEC: D86C1100 58000015
	ds_read_b32 v89, v21 offset:4416                           // 000000008FF4: D86C1140 59000015
	ds_read_b32 v92, v21 offset:6528                           // 000000008FFC: D86C1980 5C000015
	ds_read_b32 v93, v21 offset:6592                           // 000000009004: D86C19C0 5D000015
	ds_read_b32 v96, v21 offset:8704                           // 00000000900C: D86C2200 60000015
	ds_read_b32 v97, v21 offset:8768                           // 000000009014: D86C2240 61000015
	ds_read_b32 v100, v21 offset:10880                         // 00000000901C: D86C2A80 64000015
	ds_read_b32 v101, v21 offset:10944                         // 000000009024: D86C2AC0 65000015
	ds_read_b32 v104, v21 offset:13056                         // 00000000902C: D86C3300 68000015
	ds_read_b32 v105, v21 offset:13120                         // 000000009034: D86C3340 69000015
	ds_read_b32 v108, v21 offset:15232                         // 00000000903C: D86C3B80 6C000015
	ds_read_b32 v109, v21 offset:15296                         // 000000009044: D86C3BC0 6D000015
	ds_read_b32 v112, v21 offset:17408                         // 00000000904C: D86C4400 70000015
	ds_read_b32 v113, v21 offset:17472                         // 000000009054: D86C4440 71000015
	ds_read_b32 v116, v21 offset:19584                         // 00000000905C: D86C4C80 74000015
	ds_read_b32 v117, v21 offset:19648                         // 000000009064: D86C4CC0 75000015
	ds_read_b32 v120, v21 offset:21760                         // 00000000906C: D86C5500 78000015
	ds_read_b32 v121, v21 offset:21824                         // 000000009074: D86C5540 79000015
	ds_read_b32 v124, v21 offset:23936                         // 00000000907C: D86C5D80 7C000015
	ds_read_b32 v125, v21 offset:24000                         // 000000009084: D86C5DC0 7D000015
	ds_read_b32 v128, v21 offset:26112                         // 00000000908C: D86C6600 80000015
	ds_read_b32 v129, v21 offset:26176                         // 000000009094: D86C6640 81000015
	ds_read_b32 v132, v21 offset:28288                         // 00000000909C: D86C6E80 84000015
	ds_read_b32 v133, v21 offset:28352                         // 0000000090A4: D86C6EC0 85000015
	ds_read_b32 v136, v21 offset:30464                         // 0000000090AC: D86C7700 88000015
	ds_read_b32 v137, v21 offset:30528                         // 0000000090B4: D86C7740 89000015
	ds_read_b32 v140, v21 offset:32640                         // 0000000090BC: D86C7F80 8C000015
	ds_read_b32 v141, v21 offset:32704                         // 0000000090C4: D86C7FC0 8D000015
	s_waitcnt lgkmcnt(0)                                       // 0000000090CC: BF8CC07F
	s_mov_b32 s36, -1                                          // 0000000090D0: BEA400C1
	s_mov_b32 s37, -1                                          // 0000000090D4: BEA500C1
	v_mov_b32_e32 v7, 0                                        // 0000000090D8: 7E0E0280
	s_mov_b64 exec, s[36:37]                                   // 0000000090DC: BEFE0124
	v_mov_b32_e32 v6, v62                                      // 0000000090E0: 7E0C033E
	s_mov_b64 s[60:61], 0                                      // 0000000090E4: BEBC0180
	v_readlane_b32 s82, v3, 0                                  // 0000000090E8: D2890052 00010103
	s_and_b32 s82, s82, 0xffffff                               // 0000000090F0: 8652FF52 00FFFFFF
	s_cmp_lt_u32 s82, s66                                      // 0000000090F8: BF0A4252
	s_cselect_b32 s20, s36, s60                                // 0000000090FC: 85143C24
	v_readlane_b32 s82, v3, 1                                  // 000000009100: D2890052 00010303
	s_and_b32 s82, s82, 0xffffff                               // 000000009108: 8652FF52 00FFFFFF
	s_cmp_lt_u32 s82, s66                                      // 000000009110: BF0A4252
	s_cselect_b32 s21, s36, s60                                // 000000009114: 85153C24
	s_mov_b64 exec, s[20:21]                                   // 000000009118: BEFE0114
	global_atomic_add_f32 v6, v80, s[8:9]                      // 00000000911C: DD348000 00085006
	global_atomic_add_f32 v6, v84, s[8:9] offset:256           // 000000009124: DD348100 00085406
	s_mov_b64 exec, s[36:37]                                   // 00000000912C: BEFE0124
	v_mov_b32_e32 v6, v63                                      // 000000009130: 7E0C033F
	s_mov_b64 s[60:61], 0                                      // 000000009134: BEBC0180
	v_readlane_b32 s82, v3, 2                                  // 000000009138: D2890052 00010503
	s_and_b32 s82, s82, 0xffffff                               // 000000009140: 8652FF52 00FFFFFF
	s_cmp_lt_u32 s82, s66                                      // 000000009148: BF0A4252
	s_cselect_b32 s20, s36, s60                                // 00000000914C: 85143C24
	v_readlane_b32 s82, v3, 3                                  // 000000009150: D2890052 00010703
	s_and_b32 s82, s82, 0xffffff                               // 000000009158: 8652FF52 00FFFFFF
	s_cmp_lt_u32 s82, s66                                      // 000000009160: BF0A4252
	s_cselect_b32 s21, s36, s60                                // 000000009164: 85153C24
	s_mov_b64 exec, s[20:21]                                   // 000000009168: BEFE0114
	global_atomic_add_f32 v6, v81, s[8:9]                      // 00000000916C: DD348000 00085106
	global_atomic_add_f32 v6, v85, s[8:9] offset:256           // 000000009174: DD348100 00085506
	s_mov_b64 exec, s[36:37]                                   // 00000000917C: BEFE0124
	v_mov_b32_e32 v6, v64                                      // 000000009180: 7E0C0340
	s_mov_b64 s[60:61], 0                                      // 000000009184: BEBC0180
	v_readlane_b32 s82, v3, 4                                  // 000000009188: D2890052 00010903
	s_and_b32 s82, s82, 0xffffff                               // 000000009190: 8652FF52 00FFFFFF
	s_cmp_lt_u32 s82, s66                                      // 000000009198: BF0A4252
	s_cselect_b32 s20, s36, s60                                // 00000000919C: 85143C24
	v_readlane_b32 s82, v3, 5                                  // 0000000091A0: D2890052 00010B03
	s_and_b32 s82, s82, 0xffffff                               // 0000000091A8: 8652FF52 00FFFFFF
	s_cmp_lt_u32 s82, s66                                      // 0000000091B0: BF0A4252
	s_cselect_b32 s21, s36, s60                                // 0000000091B4: 85153C24
	s_mov_b64 exec, s[20:21]                                   // 0000000091B8: BEFE0114
	global_atomic_add_f32 v6, v88, s[8:9]                      // 0000000091BC: DD348000 00085806
	global_atomic_add_f32 v6, v92, s[8:9] offset:256           // 0000000091C4: DD348100 00085C06
	s_mov_b64 exec, s[36:37]                                   // 0000000091CC: BEFE0124
	v_mov_b32_e32 v6, v65                                      // 0000000091D0: 7E0C0341
	s_mov_b64 s[60:61], 0                                      // 0000000091D4: BEBC0180
	v_readlane_b32 s82, v3, 6                                  // 0000000091D8: D2890052 00010D03
	s_and_b32 s82, s82, 0xffffff                               // 0000000091E0: 8652FF52 00FFFFFF
	s_cmp_lt_u32 s82, s66                                      // 0000000091E8: BF0A4252
	s_cselect_b32 s20, s36, s60                                // 0000000091EC: 85143C24
	v_readlane_b32 s82, v3, 7                                  // 0000000091F0: D2890052 00010F03
	s_and_b32 s82, s82, 0xffffff                               // 0000000091F8: 8652FF52 00FFFFFF
	s_cmp_lt_u32 s82, s66                                      // 000000009200: BF0A4252
	s_cselect_b32 s21, s36, s60                                // 000000009204: 85153C24
	s_mov_b64 exec, s[20:21]                                   // 000000009208: BEFE0114
	global_atomic_add_f32 v6, v89, s[8:9]                      // 00000000920C: DD348000 00085906
	global_atomic_add_f32 v6, v93, s[8:9] offset:256           // 000000009214: DD348100 00085D06
	s_mov_b64 exec, s[36:37]                                   // 00000000921C: BEFE0124
	v_mov_b32_e32 v6, v66                                      // 000000009220: 7E0C0342
	s_mov_b64 s[60:61], 0                                      // 000000009224: BEBC0180
	v_readlane_b32 s82, v3, 8                                  // 000000009228: D2890052 00011103
	s_and_b32 s82, s82, 0xffffff                               // 000000009230: 8652FF52 00FFFFFF
	s_cmp_lt_u32 s82, s66                                      // 000000009238: BF0A4252
	s_cselect_b32 s20, s36, s60                                // 00000000923C: 85143C24
	v_readlane_b32 s82, v3, 9                                  // 000000009240: D2890052 00011303
	s_and_b32 s82, s82, 0xffffff                               // 000000009248: 8652FF52 00FFFFFF
	s_cmp_lt_u32 s82, s66                                      // 000000009250: BF0A4252
	s_cselect_b32 s21, s36, s60                                // 000000009254: 85153C24
	s_mov_b64 exec, s[20:21]                                   // 000000009258: BEFE0114
	global_atomic_add_f32 v6, v96, s[8:9]                      // 00000000925C: DD348000 00086006
	global_atomic_add_f32 v6, v100, s[8:9] offset:256          // 000000009264: DD348100 00086406
	s_mov_b64 exec, s[36:37]                                   // 00000000926C: BEFE0124
	v_mov_b32_e32 v6, v67                                      // 000000009270: 7E0C0343
	s_mov_b64 s[60:61], 0                                      // 000000009274: BEBC0180
	v_readlane_b32 s82, v3, 10                                 // 000000009278: D2890052 00011503
	s_and_b32 s82, s82, 0xffffff                               // 000000009280: 8652FF52 00FFFFFF
	s_cmp_lt_u32 s82, s66                                      // 000000009288: BF0A4252
	s_cselect_b32 s20, s36, s60                                // 00000000928C: 85143C24
	v_readlane_b32 s82, v3, 11                                 // 000000009290: D2890052 00011703
	s_and_b32 s82, s82, 0xffffff                               // 000000009298: 8652FF52 00FFFFFF
	s_cmp_lt_u32 s82, s66                                      // 0000000092A0: BF0A4252
	s_cselect_b32 s21, s36, s60                                // 0000000092A4: 85153C24
	s_mov_b64 exec, s[20:21]                                   // 0000000092A8: BEFE0114
	global_atomic_add_f32 v6, v97, s[8:9]                      // 0000000092AC: DD348000 00086106
	global_atomic_add_f32 v6, v101, s[8:9] offset:256          // 0000000092B4: DD348100 00086506
	s_mov_b64 exec, s[36:37]                                   // 0000000092BC: BEFE0124
	v_mov_b32_e32 v6, v68                                      // 0000000092C0: 7E0C0344
	s_mov_b64 s[60:61], 0                                      // 0000000092C4: BEBC0180
	v_readlane_b32 s82, v3, 12                                 // 0000000092C8: D2890052 00011903
	s_and_b32 s82, s82, 0xffffff                               // 0000000092D0: 8652FF52 00FFFFFF
	s_cmp_lt_u32 s82, s66                                      // 0000000092D8: BF0A4252
	s_cselect_b32 s20, s36, s60                                // 0000000092DC: 85143C24
	v_readlane_b32 s82, v3, 13                                 // 0000000092E0: D2890052 00011B03
	s_and_b32 s82, s82, 0xffffff                               // 0000000092E8: 8652FF52 00FFFFFF
	s_cmp_lt_u32 s82, s66                                      // 0000000092F0: BF0A4252
	s_cselect_b32 s21, s36, s60                                // 0000000092F4: 85153C24
	s_mov_b64 exec, s[20:21]                                   // 0000000092F8: BEFE0114
	global_atomic_add_f32 v6, v104, s[8:9]                     // 0000000092FC: DD348000 00086806
	global_atomic_add_f32 v6, v108, s[8:9] offset:256          // 000000009304: DD348100 00086C06
	s_mov_b64 exec, s[36:37]                                   // 00000000930C: BEFE0124
	v_mov_b32_e32 v6, v69                                      // 000000009310: 7E0C0345
	s_mov_b64 s[60:61], 0                                      // 000000009314: BEBC0180
	v_readlane_b32 s82, v3, 14                                 // 000000009318: D2890052 00011D03
	s_and_b32 s82, s82, 0xffffff                               // 000000009320: 8652FF52 00FFFFFF
	s_cmp_lt_u32 s82, s66                                      // 000000009328: BF0A4252
	s_cselect_b32 s20, s36, s60                                // 00000000932C: 85143C24
	v_readlane_b32 s82, v3, 15                                 // 000000009330: D2890052 00011F03
	s_and_b32 s82, s82, 0xffffff                               // 000000009338: 8652FF52 00FFFFFF
	s_cmp_lt_u32 s82, s66                                      // 000000009340: BF0A4252
	s_cselect_b32 s21, s36, s60                                // 000000009344: 85153C24
	s_mov_b64 exec, s[20:21]                                   // 000000009348: BEFE0114
	global_atomic_add_f32 v6, v105, s[8:9]                     // 00000000934C: DD348000 00086906
	global_atomic_add_f32 v6, v109, s[8:9] offset:256          // 000000009354: DD348100 00086D06
	s_mov_b64 exec, s[36:37]                                   // 00000000935C: BEFE0124
	v_mov_b32_e32 v6, v70                                      // 000000009360: 7E0C0346
	s_mov_b64 s[60:61], 0                                      // 000000009364: BEBC0180
	v_readlane_b32 s82, v3, 16                                 // 000000009368: D2890052 00012103
	s_and_b32 s82, s82, 0xffffff                               // 000000009370: 8652FF52 00FFFFFF
	s_cmp_lt_u32 s82, s66                                      // 000000009378: BF0A4252
	s_cselect_b32 s20, s36, s60                                // 00000000937C: 85143C24
	v_readlane_b32 s82, v3, 17                                 // 000000009380: D2890052 00012303
	s_and_b32 s82, s82, 0xffffff                               // 000000009388: 8652FF52 00FFFFFF
	s_cmp_lt_u32 s82, s66                                      // 000000009390: BF0A4252
	s_cselect_b32 s21, s36, s60                                // 000000009394: 85153C24
	s_mov_b64 exec, s[20:21]                                   // 000000009398: BEFE0114
	global_atomic_add_f32 v6, v112, s[8:9]                     // 00000000939C: DD348000 00087006
	global_atomic_add_f32 v6, v116, s[8:9] offset:256          // 0000000093A4: DD348100 00087406
	s_mov_b64 exec, s[36:37]                                   // 0000000093AC: BEFE0124
	v_mov_b32_e32 v6, v71                                      // 0000000093B0: 7E0C0347
	s_mov_b64 s[60:61], 0                                      // 0000000093B4: BEBC0180
	v_readlane_b32 s82, v3, 18                                 // 0000000093B8: D2890052 00012503
	s_and_b32 s82, s82, 0xffffff                               // 0000000093C0: 8652FF52 00FFFFFF
	s_cmp_lt_u32 s82, s66                                      // 0000000093C8: BF0A4252
	s_cselect_b32 s20, s36, s60                                // 0000000093CC: 85143C24
	v_readlane_b32 s82, v3, 19                                 // 0000000093D0: D2890052 00012703
	s_and_b32 s82, s82, 0xffffff                               // 0000000093D8: 8652FF52 00FFFFFF
	s_cmp_lt_u32 s82, s66                                      // 0000000093E0: BF0A4252
	s_cselect_b32 s21, s36, s60                                // 0000000093E4: 85153C24
	s_mov_b64 exec, s[20:21]                                   // 0000000093E8: BEFE0114
	global_atomic_add_f32 v6, v113, s[8:9]                     // 0000000093EC: DD348000 00087106
	global_atomic_add_f32 v6, v117, s[8:9] offset:256          // 0000000093F4: DD348100 00087506
	s_mov_b64 exec, s[36:37]                                   // 0000000093FC: BEFE0124
	v_mov_b32_e32 v6, v72                                      // 000000009400: 7E0C0348
	s_mov_b64 s[60:61], 0                                      // 000000009404: BEBC0180
	v_readlane_b32 s82, v3, 20                                 // 000000009408: D2890052 00012903
	s_and_b32 s82, s82, 0xffffff                               // 000000009410: 8652FF52 00FFFFFF
	s_cmp_lt_u32 s82, s66                                      // 000000009418: BF0A4252
	s_cselect_b32 s20, s36, s60                                // 00000000941C: 85143C24
	v_readlane_b32 s82, v3, 21                                 // 000000009420: D2890052 00012B03
	s_and_b32 s82, s82, 0xffffff                               // 000000009428: 8652FF52 00FFFFFF
	s_cmp_lt_u32 s82, s66                                      // 000000009430: BF0A4252
	s_cselect_b32 s21, s36, s60                                // 000000009434: 85153C24
	s_mov_b64 exec, s[20:21]                                   // 000000009438: BEFE0114
	global_atomic_add_f32 v6, v120, s[8:9]                     // 00000000943C: DD348000 00087806
	global_atomic_add_f32 v6, v124, s[8:9] offset:256          // 000000009444: DD348100 00087C06
	s_mov_b64 exec, s[36:37]                                   // 00000000944C: BEFE0124
	v_mov_b32_e32 v6, v73                                      // 000000009450: 7E0C0349
	s_mov_b64 s[60:61], 0                                      // 000000009454: BEBC0180
	v_readlane_b32 s82, v3, 22                                 // 000000009458: D2890052 00012D03
	s_and_b32 s82, s82, 0xffffff                               // 000000009460: 8652FF52 00FFFFFF
	s_cmp_lt_u32 s82, s66                                      // 000000009468: BF0A4252
	s_cselect_b32 s20, s36, s60                                // 00000000946C: 85143C24
	v_readlane_b32 s82, v3, 23                                 // 000000009470: D2890052 00012F03
	s_and_b32 s82, s82, 0xffffff                               // 000000009478: 8652FF52 00FFFFFF
	s_cmp_lt_u32 s82, s66                                      // 000000009480: BF0A4252
	s_cselect_b32 s21, s36, s60                                // 000000009484: 85153C24
	s_mov_b64 exec, s[20:21]                                   // 000000009488: BEFE0114
	global_atomic_add_f32 v6, v121, s[8:9]                     // 00000000948C: DD348000 00087906
	global_atomic_add_f32 v6, v125, s[8:9] offset:256          // 000000009494: DD348100 00087D06
	s_mov_b64 exec, s[36:37]                                   // 00000000949C: BEFE0124
	v_mov_b32_e32 v6, v74                                      // 0000000094A0: 7E0C034A
	s_mov_b64 s[60:61], 0                                      // 0000000094A4: BEBC0180
	v_readlane_b32 s82, v3, 24                                 // 0000000094A8: D2890052 00013103
	s_and_b32 s82, s82, 0xffffff                               // 0000000094B0: 8652FF52 00FFFFFF
	s_cmp_lt_u32 s82, s66                                      // 0000000094B8: BF0A4252
	s_cselect_b32 s20, s36, s60                                // 0000000094BC: 85143C24
	v_readlane_b32 s82, v3, 25                                 // 0000000094C0: D2890052 00013303
	s_and_b32 s82, s82, 0xffffff                               // 0000000094C8: 8652FF52 00FFFFFF
	s_cmp_lt_u32 s82, s66                                      // 0000000094D0: BF0A4252
	s_cselect_b32 s21, s36, s60                                // 0000000094D4: 85153C24
	s_mov_b64 exec, s[20:21]                                   // 0000000094D8: BEFE0114
	global_atomic_add_f32 v6, v128, s[8:9]                     // 0000000094DC: DD348000 00088006
	global_atomic_add_f32 v6, v132, s[8:9] offset:256          // 0000000094E4: DD348100 00088406
	s_mov_b64 exec, s[36:37]                                   // 0000000094EC: BEFE0124
	v_mov_b32_e32 v6, v75                                      // 0000000094F0: 7E0C034B
	s_mov_b64 s[60:61], 0                                      // 0000000094F4: BEBC0180
	v_readlane_b32 s82, v3, 26                                 // 0000000094F8: D2890052 00013503
	s_and_b32 s82, s82, 0xffffff                               // 000000009500: 8652FF52 00FFFFFF
	s_cmp_lt_u32 s82, s66                                      // 000000009508: BF0A4252
	s_cselect_b32 s20, s36, s60                                // 00000000950C: 85143C24
	v_readlane_b32 s82, v3, 27                                 // 000000009510: D2890052 00013703
	s_and_b32 s82, s82, 0xffffff                               // 000000009518: 8652FF52 00FFFFFF
	s_cmp_lt_u32 s82, s66                                      // 000000009520: BF0A4252
	s_cselect_b32 s21, s36, s60                                // 000000009524: 85153C24
	s_mov_b64 exec, s[20:21]                                   // 000000009528: BEFE0114
	global_atomic_add_f32 v6, v129, s[8:9]                     // 00000000952C: DD348000 00088106
	global_atomic_add_f32 v6, v133, s[8:9] offset:256          // 000000009534: DD348100 00088506
	s_mov_b64 exec, s[36:37]                                   // 00000000953C: BEFE0124
	v_mov_b32_e32 v6, v76                                      // 000000009540: 7E0C034C
	s_mov_b64 s[60:61], 0                                      // 000000009544: BEBC0180
	v_readlane_b32 s82, v3, 28                                 // 000000009548: D2890052 00013903
	s_and_b32 s82, s82, 0xffffff                               // 000000009550: 8652FF52 00FFFFFF
	s_cmp_lt_u32 s82, s66                                      // 000000009558: BF0A4252
	s_cselect_b32 s20, s36, s60                                // 00000000955C: 85143C24
	v_readlane_b32 s82, v3, 29                                 // 000000009560: D2890052 00013B03
	s_and_b32 s82, s82, 0xffffff                               // 000000009568: 8652FF52 00FFFFFF
	s_cmp_lt_u32 s82, s66                                      // 000000009570: BF0A4252
	s_cselect_b32 s21, s36, s60                                // 000000009574: 85153C24
	s_mov_b64 exec, s[20:21]                                   // 000000009578: BEFE0114
	global_atomic_add_f32 v6, v136, s[8:9]                     // 00000000957C: DD348000 00088806
	global_atomic_add_f32 v6, v140, s[8:9] offset:256          // 000000009584: DD348100 00088C06
	s_mov_b64 exec, s[36:37]                                   // 00000000958C: BEFE0124
	v_mov_b32_e32 v6, v77                                      // 000000009590: 7E0C034D
	s_mov_b64 s[60:61], 0                                      // 000000009594: BEBC0180
	v_readlane_b32 s82, v3, 30                                 // 000000009598: D2890052 00013D03
	s_and_b32 s82, s82, 0xffffff                               // 0000000095A0: 8652FF52 00FFFFFF
	s_cmp_lt_u32 s82, s66                                      // 0000000095A8: BF0A4252
	s_cselect_b32 s20, s36, s60                                // 0000000095AC: 85143C24
	v_readlane_b32 s82, v3, 31                                 // 0000000095B0: D2890052 00013F03
	s_and_b32 s82, s82, 0xffffff                               // 0000000095B8: 8652FF52 00FFFFFF
	s_cmp_lt_u32 s82, s66                                      // 0000000095C0: BF0A4252
	s_cselect_b32 s21, s36, s60                                // 0000000095C4: 85153C24
	s_mov_b64 exec, s[20:21]                                   // 0000000095C8: BEFE0114
	global_atomic_add_f32 v6, v137, s[8:9]                     // 0000000095CC: DD348000 00088906
	global_atomic_add_f32 v6, v141, s[8:9] offset:256          // 0000000095D4: DD348100 00088D06
	s_mov_b64 exec, s[36:37]                                   // 0000000095DC: BEFE0124
	ds_write_b64 v20, v[82:83]                                 // 0000000095E0: D89A0000 00005214
	ds_write_b64 v20, v[86:87] offset:4352                     // 0000000095E8: D89A1100 00005614
	ds_write_b64 v20, v[90:91] offset:8704                     // 0000000095F0: D89A2200 00005A14
	ds_write_b64 v20, v[94:95] offset:13056                    // 0000000095F8: D89A3300 00005E14
	ds_write_b64 v20, v[98:99] offset:17408                    // 000000009600: D89A4400 00006214
	ds_write_b64 v20, v[102:103] offset:21760                  // 000000009608: D89A5500 00006614
	ds_write_b64 v20, v[106:107] offset:26112                  // 000000009610: D89A6600 00006A14
	ds_write_b64 v20, v[110:111] offset:30464                  // 000000009618: D89A7700 00006E14
	ds_write_b64 v20, v[114:115] offset:2176                   // 000000009620: D89A0880 00007214
	ds_write_b64 v20, v[118:119] offset:6528                   // 000000009628: D89A1980 00007614
	ds_write_b64 v20, v[122:123] offset:10880                  // 000000009630: D89A2A80 00007A14
	ds_write_b64 v20, v[126:127] offset:15232                  // 000000009638: D89A3B80 00007E14
	ds_write_b64 v20, v[130:131] offset:19584                  // 000000009640: D89A4C80 00008214
	ds_write_b64 v20, v[134:135] offset:23936                  // 000000009648: D89A5D80 00008614
	ds_write_b64 v20, v[138:139] offset:28288                  // 000000009650: D89A6E80 00008A14
	ds_write_b64 v20, v[142:143] offset:32640                  // 000000009658: D89A7F80 00008E14
	s_waitcnt lgkmcnt(0)                                       // 000000009660: BF8CC07F
	s_barrier                                                  // 000000009664: BF8A0000
	ds_read_b32 v82, v21                                       // 000000009668: D86C0000 52000015
	ds_read_b32 v83, v21 offset:64                             // 000000009670: D86C0040 53000015
	ds_read_b32 v86, v21 offset:2176                           // 000000009678: D86C0880 56000015
	ds_read_b32 v87, v21 offset:2240                           // 000000009680: D86C08C0 57000015
	ds_read_b32 v90, v21 offset:4352                           // 000000009688: D86C1100 5A000015
	ds_read_b32 v91, v21 offset:4416                           // 000000009690: D86C1140 5B000015
	ds_read_b32 v94, v21 offset:6528                           // 000000009698: D86C1980 5E000015
	ds_read_b32 v95, v21 offset:6592                           // 0000000096A0: D86C19C0 5F000015
	ds_read_b32 v98, v21 offset:8704                           // 0000000096A8: D86C2200 62000015
	ds_read_b32 v99, v21 offset:8768                           // 0000000096B0: D86C2240 63000015
	ds_read_b32 v102, v21 offset:10880                         // 0000000096B8: D86C2A80 66000015
	ds_read_b32 v103, v21 offset:10944                         // 0000000096C0: D86C2AC0 67000015
	ds_read_b32 v106, v21 offset:13056                         // 0000000096C8: D86C3300 6A000015
	ds_read_b32 v107, v21 offset:13120                         // 0000000096D0: D86C3340 6B000015
	ds_read_b32 v110, v21 offset:15232                         // 0000000096D8: D86C3B80 6E000015
	ds_read_b32 v111, v21 offset:15296                         // 0000000096E0: D86C3BC0 6F000015
	ds_read_b32 v114, v21 offset:17408                         // 0000000096E8: D86C4400 72000015
	ds_read_b32 v115, v21 offset:17472                         // 0000000096F0: D86C4440 73000015
	ds_read_b32 v118, v21 offset:19584                         // 0000000096F8: D86C4C80 76000015
	ds_read_b32 v119, v21 offset:19648                         // 000000009700: D86C4CC0 77000015
	ds_read_b32 v122, v21 offset:21760                         // 000000009708: D86C5500 7A000015
	ds_read_b32 v123, v21 offset:21824                         // 000000009710: D86C5540 7B000015
	ds_read_b32 v126, v21 offset:23936                         // 000000009718: D86C5D80 7E000015
	ds_read_b32 v127, v21 offset:24000                         // 000000009720: D86C5DC0 7F000015
	ds_read_b32 v130, v21 offset:26112                         // 000000009728: D86C6600 82000015
	ds_read_b32 v131, v21 offset:26176                         // 000000009730: D86C6640 83000015
	ds_read_b32 v134, v21 offset:28288                         // 000000009738: D86C6E80 86000015
	ds_read_b32 v135, v21 offset:28352                         // 000000009740: D86C6EC0 87000015
	ds_read_b32 v138, v21 offset:30464                         // 000000009748: D86C7700 8A000015
	ds_read_b32 v139, v21 offset:30528                         // 000000009750: D86C7740 8B000015
	ds_read_b32 v142, v21 offset:32640                         // 000000009758: D86C7F80 8E000015
	ds_read_b32 v143, v21 offset:32704                         // 000000009760: D86C7FC0 8F000015
	s_waitcnt lgkmcnt(0)                                       // 000000009768: BF8CC07F
	v_mov_b32_e32 v7, 0                                        // 00000000976C: 7E0E0280
	s_mov_b64 exec, s[36:37]                                   // 000000009770: BEFE0124
	v_mov_b32_e32 v6, v62                                      // 000000009774: 7E0C033E
	s_mov_b64 s[60:61], 0                                      // 000000009778: BEBC0180
	v_readlane_b32 s82, v3, 0                                  // 00000000977C: D2890052 00010103
	s_and_b32 s82, s82, 0xffffff                               // 000000009784: 8652FF52 00FFFFFF
	s_cmp_lt_u32 s82, s66                                      // 00000000978C: BF0A4252
	s_cselect_b32 s20, s36, s60                                // 000000009790: 85143C24
	v_readlane_b32 s82, v3, 1                                  // 000000009794: D2890052 00010303
	s_and_b32 s82, s82, 0xffffff                               // 00000000979C: 8652FF52 00FFFFFF
	s_cmp_lt_u32 s82, s66                                      // 0000000097A4: BF0A4252
	s_cselect_b32 s21, s36, s60                                // 0000000097A8: 85153C24
	s_mov_b64 exec, s[20:21]                                   // 0000000097AC: BEFE0114
	global_atomic_add_f32 v6, v82, s[8:9] offset:8             // 0000000097B0: DD348008 00085206
	global_atomic_add_f32 v6, v86, s[8:9] offset:264           // 0000000097B8: DD348108 00085606
	s_mov_b64 exec, s[36:37]                                   // 0000000097C0: BEFE0124
	v_mov_b32_e32 v6, v63                                      // 0000000097C4: 7E0C033F
	s_mov_b64 s[60:61], 0                                      // 0000000097C8: BEBC0180
	v_readlane_b32 s82, v3, 2                                  // 0000000097CC: D2890052 00010503
	s_and_b32 s82, s82, 0xffffff                               // 0000000097D4: 8652FF52 00FFFFFF
	s_cmp_lt_u32 s82, s66                                      // 0000000097DC: BF0A4252
	s_cselect_b32 s20, s36, s60                                // 0000000097E0: 85143C24
	v_readlane_b32 s82, v3, 3                                  // 0000000097E4: D2890052 00010703
	s_and_b32 s82, s82, 0xffffff                               // 0000000097EC: 8652FF52 00FFFFFF
	s_cmp_lt_u32 s82, s66                                      // 0000000097F4: BF0A4252
	s_cselect_b32 s21, s36, s60                                // 0000000097F8: 85153C24
	s_mov_b64 exec, s[20:21]                                   // 0000000097FC: BEFE0114
	global_atomic_add_f32 v6, v83, s[8:9] offset:8             // 000000009800: DD348008 00085306
	global_atomic_add_f32 v6, v87, s[8:9] offset:264           // 000000009808: DD348108 00085706
	s_mov_b64 exec, s[36:37]                                   // 000000009810: BEFE0124
	v_mov_b32_e32 v6, v64                                      // 000000009814: 7E0C0340
	s_mov_b64 s[60:61], 0                                      // 000000009818: BEBC0180
	v_readlane_b32 s82, v3, 4                                  // 00000000981C: D2890052 00010903
	s_and_b32 s82, s82, 0xffffff                               // 000000009824: 8652FF52 00FFFFFF
	s_cmp_lt_u32 s82, s66                                      // 00000000982C: BF0A4252
	s_cselect_b32 s20, s36, s60                                // 000000009830: 85143C24
	v_readlane_b32 s82, v3, 5                                  // 000000009834: D2890052 00010B03
	s_and_b32 s82, s82, 0xffffff                               // 00000000983C: 8652FF52 00FFFFFF
	s_cmp_lt_u32 s82, s66                                      // 000000009844: BF0A4252
	s_cselect_b32 s21, s36, s60                                // 000000009848: 85153C24
	s_mov_b64 exec, s[20:21]                                   // 00000000984C: BEFE0114
	global_atomic_add_f32 v6, v90, s[8:9] offset:8             // 000000009850: DD348008 00085A06
	global_atomic_add_f32 v6, v94, s[8:9] offset:264           // 000000009858: DD348108 00085E06
	s_mov_b64 exec, s[36:37]                                   // 000000009860: BEFE0124
	v_mov_b32_e32 v6, v65                                      // 000000009864: 7E0C0341
	s_mov_b64 s[60:61], 0                                      // 000000009868: BEBC0180
	v_readlane_b32 s82, v3, 6                                  // 00000000986C: D2890052 00010D03
	s_and_b32 s82, s82, 0xffffff                               // 000000009874: 8652FF52 00FFFFFF
	s_cmp_lt_u32 s82, s66                                      // 00000000987C: BF0A4252
	s_cselect_b32 s20, s36, s60                                // 000000009880: 85143C24
	v_readlane_b32 s82, v3, 7                                  // 000000009884: D2890052 00010F03
	s_and_b32 s82, s82, 0xffffff                               // 00000000988C: 8652FF52 00FFFFFF
	s_cmp_lt_u32 s82, s66                                      // 000000009894: BF0A4252
	s_cselect_b32 s21, s36, s60                                // 000000009898: 85153C24
	s_mov_b64 exec, s[20:21]                                   // 00000000989C: BEFE0114
	global_atomic_add_f32 v6, v91, s[8:9] offset:8             // 0000000098A0: DD348008 00085B06
	global_atomic_add_f32 v6, v95, s[8:9] offset:264           // 0000000098A8: DD348108 00085F06
	s_mov_b64 exec, s[36:37]                                   // 0000000098B0: BEFE0124
	v_mov_b32_e32 v6, v66                                      // 0000000098B4: 7E0C0342
	s_mov_b64 s[60:61], 0                                      // 0000000098B8: BEBC0180
	v_readlane_b32 s82, v3, 8                                  // 0000000098BC: D2890052 00011103
	s_and_b32 s82, s82, 0xffffff                               // 0000000098C4: 8652FF52 00FFFFFF
	s_cmp_lt_u32 s82, s66                                      // 0000000098CC: BF0A4252
	s_cselect_b32 s20, s36, s60                                // 0000000098D0: 85143C24
	v_readlane_b32 s82, v3, 9                                  // 0000000098D4: D2890052 00011303
	s_and_b32 s82, s82, 0xffffff                               // 0000000098DC: 8652FF52 00FFFFFF
	s_cmp_lt_u32 s82, s66                                      // 0000000098E4: BF0A4252
	s_cselect_b32 s21, s36, s60                                // 0000000098E8: 85153C24
	s_mov_b64 exec, s[20:21]                                   // 0000000098EC: BEFE0114
	global_atomic_add_f32 v6, v98, s[8:9] offset:8             // 0000000098F0: DD348008 00086206
	global_atomic_add_f32 v6, v102, s[8:9] offset:264          // 0000000098F8: DD348108 00086606
	s_mov_b64 exec, s[36:37]                                   // 000000009900: BEFE0124
	v_mov_b32_e32 v6, v67                                      // 000000009904: 7E0C0343
	s_mov_b64 s[60:61], 0                                      // 000000009908: BEBC0180
	v_readlane_b32 s82, v3, 10                                 // 00000000990C: D2890052 00011503
	s_and_b32 s82, s82, 0xffffff                               // 000000009914: 8652FF52 00FFFFFF
	s_cmp_lt_u32 s82, s66                                      // 00000000991C: BF0A4252
	s_cselect_b32 s20, s36, s60                                // 000000009920: 85143C24
	v_readlane_b32 s82, v3, 11                                 // 000000009924: D2890052 00011703
	s_and_b32 s82, s82, 0xffffff                               // 00000000992C: 8652FF52 00FFFFFF
	s_cmp_lt_u32 s82, s66                                      // 000000009934: BF0A4252
	s_cselect_b32 s21, s36, s60                                // 000000009938: 85153C24
	s_mov_b64 exec, s[20:21]                                   // 00000000993C: BEFE0114
	global_atomic_add_f32 v6, v99, s[8:9] offset:8             // 000000009940: DD348008 00086306
	global_atomic_add_f32 v6, v103, s[8:9] offset:264          // 000000009948: DD348108 00086706
	s_mov_b64 exec, s[36:37]                                   // 000000009950: BEFE0124
	v_mov_b32_e32 v6, v68                                      // 000000009954: 7E0C0344
	s_mov_b64 s[60:61], 0                                      // 000000009958: BEBC0180
	v_readlane_b32 s82, v3, 12                                 // 00000000995C: D2890052 00011903
	s_and_b32 s82, s82, 0xffffff                               // 000000009964: 8652FF52 00FFFFFF
	s_cmp_lt_u32 s82, s66                                      // 00000000996C: BF0A4252
	s_cselect_b32 s20, s36, s60                                // 000000009970: 85143C24
	v_readlane_b32 s82, v3, 13                                 // 000000009974: D2890052 00011B03
	s_and_b32 s82, s82, 0xffffff                               // 00000000997C: 8652FF52 00FFFFFF
	s_cmp_lt_u32 s82, s66                                      // 000000009984: BF0A4252
	s_cselect_b32 s21, s36, s60                                // 000000009988: 85153C24
	s_mov_b64 exec, s[20:21]                                   // 00000000998C: BEFE0114
	global_atomic_add_f32 v6, v106, s[8:9] offset:8            // 000000009990: DD348008 00086A06
	global_atomic_add_f32 v6, v110, s[8:9] offset:264          // 000000009998: DD348108 00086E06
	s_mov_b64 exec, s[36:37]                                   // 0000000099A0: BEFE0124
	v_mov_b32_e32 v6, v69                                      // 0000000099A4: 7E0C0345
	s_mov_b64 s[60:61], 0                                      // 0000000099A8: BEBC0180
	v_readlane_b32 s82, v3, 14                                 // 0000000099AC: D2890052 00011D03
	s_and_b32 s82, s82, 0xffffff                               // 0000000099B4: 8652FF52 00FFFFFF
	s_cmp_lt_u32 s82, s66                                      // 0000000099BC: BF0A4252
	s_cselect_b32 s20, s36, s60                                // 0000000099C0: 85143C24
	v_readlane_b32 s82, v3, 15                                 // 0000000099C4: D2890052 00011F03
	s_and_b32 s82, s82, 0xffffff                               // 0000000099CC: 8652FF52 00FFFFFF
	s_cmp_lt_u32 s82, s66                                      // 0000000099D4: BF0A4252
	s_cselect_b32 s21, s36, s60                                // 0000000099D8: 85153C24
	s_mov_b64 exec, s[20:21]                                   // 0000000099DC: BEFE0114
	global_atomic_add_f32 v6, v107, s[8:9] offset:8            // 0000000099E0: DD348008 00086B06
	global_atomic_add_f32 v6, v111, s[8:9] offset:264          // 0000000099E8: DD348108 00086F06
	s_mov_b64 exec, s[36:37]                                   // 0000000099F0: BEFE0124
	v_mov_b32_e32 v6, v70                                      // 0000000099F4: 7E0C0346
	s_mov_b64 s[60:61], 0                                      // 0000000099F8: BEBC0180
	v_readlane_b32 s82, v3, 16                                 // 0000000099FC: D2890052 00012103
	s_and_b32 s82, s82, 0xffffff                               // 000000009A04: 8652FF52 00FFFFFF
	s_cmp_lt_u32 s82, s66                                      // 000000009A0C: BF0A4252
	s_cselect_b32 s20, s36, s60                                // 000000009A10: 85143C24
	v_readlane_b32 s82, v3, 17                                 // 000000009A14: D2890052 00012303
	s_and_b32 s82, s82, 0xffffff                               // 000000009A1C: 8652FF52 00FFFFFF
	s_cmp_lt_u32 s82, s66                                      // 000000009A24: BF0A4252
	s_cselect_b32 s21, s36, s60                                // 000000009A28: 85153C24
	s_mov_b64 exec, s[20:21]                                   // 000000009A2C: BEFE0114
	global_atomic_add_f32 v6, v114, s[8:9] offset:8            // 000000009A30: DD348008 00087206
	global_atomic_add_f32 v6, v118, s[8:9] offset:264          // 000000009A38: DD348108 00087606
	s_mov_b64 exec, s[36:37]                                   // 000000009A40: BEFE0124
	v_mov_b32_e32 v6, v71                                      // 000000009A44: 7E0C0347
	s_mov_b64 s[60:61], 0                                      // 000000009A48: BEBC0180
	v_readlane_b32 s82, v3, 18                                 // 000000009A4C: D2890052 00012503
	s_and_b32 s82, s82, 0xffffff                               // 000000009A54: 8652FF52 00FFFFFF
	s_cmp_lt_u32 s82, s66                                      // 000000009A5C: BF0A4252
	s_cselect_b32 s20, s36, s60                                // 000000009A60: 85143C24
	v_readlane_b32 s82, v3, 19                                 // 000000009A64: D2890052 00012703
	s_and_b32 s82, s82, 0xffffff                               // 000000009A6C: 8652FF52 00FFFFFF
	s_cmp_lt_u32 s82, s66                                      // 000000009A74: BF0A4252
	s_cselect_b32 s21, s36, s60                                // 000000009A78: 85153C24
	s_mov_b64 exec, s[20:21]                                   // 000000009A7C: BEFE0114
	global_atomic_add_f32 v6, v115, s[8:9] offset:8            // 000000009A80: DD348008 00087306
	global_atomic_add_f32 v6, v119, s[8:9] offset:264          // 000000009A88: DD348108 00087706
	s_mov_b64 exec, s[36:37]                                   // 000000009A90: BEFE0124
	v_mov_b32_e32 v6, v72                                      // 000000009A94: 7E0C0348
	s_mov_b64 s[60:61], 0                                      // 000000009A98: BEBC0180
	v_readlane_b32 s82, v3, 20                                 // 000000009A9C: D2890052 00012903
	s_and_b32 s82, s82, 0xffffff                               // 000000009AA4: 8652FF52 00FFFFFF
	s_cmp_lt_u32 s82, s66                                      // 000000009AAC: BF0A4252
	s_cselect_b32 s20, s36, s60                                // 000000009AB0: 85143C24
	v_readlane_b32 s82, v3, 21                                 // 000000009AB4: D2890052 00012B03
	s_and_b32 s82, s82, 0xffffff                               // 000000009ABC: 8652FF52 00FFFFFF
	s_cmp_lt_u32 s82, s66                                      // 000000009AC4: BF0A4252
	s_cselect_b32 s21, s36, s60                                // 000000009AC8: 85153C24
	s_mov_b64 exec, s[20:21]                                   // 000000009ACC: BEFE0114
	global_atomic_add_f32 v6, v122, s[8:9] offset:8            // 000000009AD0: DD348008 00087A06
	global_atomic_add_f32 v6, v126, s[8:9] offset:264          // 000000009AD8: DD348108 00087E06
	s_mov_b64 exec, s[36:37]                                   // 000000009AE0: BEFE0124
	v_mov_b32_e32 v6, v73                                      // 000000009AE4: 7E0C0349
	s_mov_b64 s[60:61], 0                                      // 000000009AE8: BEBC0180
	v_readlane_b32 s82, v3, 22                                 // 000000009AEC: D2890052 00012D03
	s_and_b32 s82, s82, 0xffffff                               // 000000009AF4: 8652FF52 00FFFFFF
	s_cmp_lt_u32 s82, s66                                      // 000000009AFC: BF0A4252
	s_cselect_b32 s20, s36, s60                                // 000000009B00: 85143C24
	v_readlane_b32 s82, v3, 23                                 // 000000009B04: D2890052 00012F03
	s_and_b32 s82, s82, 0xffffff                               // 000000009B0C: 8652FF52 00FFFFFF
	s_cmp_lt_u32 s82, s66                                      // 000000009B14: BF0A4252
	s_cselect_b32 s21, s36, s60                                // 000000009B18: 85153C24
	s_mov_b64 exec, s[20:21]                                   // 000000009B1C: BEFE0114
	global_atomic_add_f32 v6, v123, s[8:9] offset:8            // 000000009B20: DD348008 00087B06
	global_atomic_add_f32 v6, v127, s[8:9] offset:264          // 000000009B28: DD348108 00087F06
	s_mov_b64 exec, s[36:37]                                   // 000000009B30: BEFE0124
	v_mov_b32_e32 v6, v74                                      // 000000009B34: 7E0C034A
	s_mov_b64 s[60:61], 0                                      // 000000009B38: BEBC0180
	v_readlane_b32 s82, v3, 24                                 // 000000009B3C: D2890052 00013103
	s_and_b32 s82, s82, 0xffffff                               // 000000009B44: 8652FF52 00FFFFFF
	s_cmp_lt_u32 s82, s66                                      // 000000009B4C: BF0A4252
	s_cselect_b32 s20, s36, s60                                // 000000009B50: 85143C24
	v_readlane_b32 s82, v3, 25                                 // 000000009B54: D2890052 00013303
	s_and_b32 s82, s82, 0xffffff                               // 000000009B5C: 8652FF52 00FFFFFF
	s_cmp_lt_u32 s82, s66                                      // 000000009B64: BF0A4252
	s_cselect_b32 s21, s36, s60                                // 000000009B68: 85153C24
	s_mov_b64 exec, s[20:21]                                   // 000000009B6C: BEFE0114
	global_atomic_add_f32 v6, v130, s[8:9] offset:8            // 000000009B70: DD348008 00088206
	global_atomic_add_f32 v6, v134, s[8:9] offset:264          // 000000009B78: DD348108 00088606
	s_mov_b64 exec, s[36:37]                                   // 000000009B80: BEFE0124
	v_mov_b32_e32 v6, v75                                      // 000000009B84: 7E0C034B
	s_mov_b64 s[60:61], 0                                      // 000000009B88: BEBC0180
	v_readlane_b32 s82, v3, 26                                 // 000000009B8C: D2890052 00013503
	s_and_b32 s82, s82, 0xffffff                               // 000000009B94: 8652FF52 00FFFFFF
	s_cmp_lt_u32 s82, s66                                      // 000000009B9C: BF0A4252
	s_cselect_b32 s20, s36, s60                                // 000000009BA0: 85143C24
	v_readlane_b32 s82, v3, 27                                 // 000000009BA4: D2890052 00013703
	s_and_b32 s82, s82, 0xffffff                               // 000000009BAC: 8652FF52 00FFFFFF
	s_cmp_lt_u32 s82, s66                                      // 000000009BB4: BF0A4252
	s_cselect_b32 s21, s36, s60                                // 000000009BB8: 85153C24
	s_mov_b64 exec, s[20:21]                                   // 000000009BBC: BEFE0114
	global_atomic_add_f32 v6, v131, s[8:9] offset:8            // 000000009BC0: DD348008 00088306
	global_atomic_add_f32 v6, v135, s[8:9] offset:264          // 000000009BC8: DD348108 00088706
	s_mov_b64 exec, s[36:37]                                   // 000000009BD0: BEFE0124
	v_mov_b32_e32 v6, v76                                      // 000000009BD4: 7E0C034C
	s_mov_b64 s[60:61], 0                                      // 000000009BD8: BEBC0180
	v_readlane_b32 s82, v3, 28                                 // 000000009BDC: D2890052 00013903
	s_and_b32 s82, s82, 0xffffff                               // 000000009BE4: 8652FF52 00FFFFFF
	s_cmp_lt_u32 s82, s66                                      // 000000009BEC: BF0A4252
	s_cselect_b32 s20, s36, s60                                // 000000009BF0: 85143C24
	v_readlane_b32 s82, v3, 29                                 // 000000009BF4: D2890052 00013B03
	s_and_b32 s82, s82, 0xffffff                               // 000000009BFC: 8652FF52 00FFFFFF
	s_cmp_lt_u32 s82, s66                                      // 000000009C04: BF0A4252
	s_cselect_b32 s21, s36, s60                                // 000000009C08: 85153C24
	s_mov_b64 exec, s[20:21]                                   // 000000009C0C: BEFE0114
	global_atomic_add_f32 v6, v138, s[8:9] offset:8            // 000000009C10: DD348008 00088A06
	global_atomic_add_f32 v6, v142, s[8:9] offset:264          // 000000009C18: DD348108 00088E06
	s_mov_b64 exec, s[36:37]                                   // 000000009C20: BEFE0124
	v_mov_b32_e32 v6, v77                                      // 000000009C24: 7E0C034D
	s_mov_b64 s[60:61], 0                                      // 000000009C28: BEBC0180
	v_readlane_b32 s82, v3, 30                                 // 000000009C2C: D2890052 00013D03
	s_and_b32 s82, s82, 0xffffff                               // 000000009C34: 8652FF52 00FFFFFF
	s_cmp_lt_u32 s82, s66                                      // 000000009C3C: BF0A4252
	s_cselect_b32 s20, s36, s60                                // 000000009C40: 85143C24
	v_readlane_b32 s82, v3, 31                                 // 000000009C44: D2890052 00013F03
	s_and_b32 s82, s82, 0xffffff                               // 000000009C4C: 8652FF52 00FFFFFF
	s_cmp_lt_u32 s82, s66                                      // 000000009C54: BF0A4252
	s_cselect_b32 s21, s36, s60                                // 000000009C58: 85153C24
	s_mov_b64 exec, s[20:21]                                   // 000000009C5C: BEFE0114
	global_atomic_add_f32 v6, v139, s[8:9] offset:8            // 000000009C60: DD348008 00088B06
	global_atomic_add_f32 v6, v143, s[8:9] offset:264          // 000000009C68: DD348108 00088F06
	s_mov_b64 exec, s[36:37]                                   // 000000009C70: BEFE0124
	ds_write_b64 v20, v[144:145]                               // 000000009C74: D89A0000 00009014
	ds_write_b64 v20, v[148:149] offset:4352                   // 000000009C7C: D89A1100 00009414
	ds_write_b64 v20, v[152:153] offset:8704                   // 000000009C84: D89A2200 00009814
	ds_write_b64 v20, v[156:157] offset:13056                  // 000000009C8C: D89A3300 00009C14
	ds_write_b64 v20, v[160:161] offset:17408                  // 000000009C94: D89A4400 0000A014
	ds_write_b64 v20, v[164:165] offset:21760                  // 000000009C9C: D89A5500 0000A414
	ds_write_b64 v20, v[168:169] offset:26112                  // 000000009CA4: D89A6600 0000A814
	ds_write_b64 v20, v[172:173] offset:30464                  // 000000009CAC: D89A7700 0000AC14
	ds_write_b64 v20, v[176:177] offset:2176                   // 000000009CB4: D89A0880 0000B014
	ds_write_b64 v20, v[180:181] offset:6528                   // 000000009CBC: D89A1980 0000B414
	ds_write_b64 v20, v[184:185] offset:10880                  // 000000009CC4: D89A2A80 0000B814
	ds_write_b64 v20, v[188:189] offset:15232                  // 000000009CCC: D89A3B80 0000BC14
	ds_write_b64 v20, v[192:193] offset:19584                  // 000000009CD4: D89A4C80 0000C014
	ds_write_b64 v20, v[196:197] offset:23936                  // 000000009CDC: D89A5D80 0000C414
	ds_write_b64 v20, v[200:201] offset:28288                  // 000000009CE4: D89A6E80 0000C814
	ds_write_b64 v20, v[204:205] offset:32640                  // 000000009CEC: D89A7F80 0000CC14
	s_waitcnt lgkmcnt(0)                                       // 000000009CF4: BF8CC07F
	s_barrier                                                  // 000000009CF8: BF8A0000
	ds_read_b32 v144, v21                                      // 000000009CFC: D86C0000 90000015
	ds_read_b32 v145, v21 offset:64                            // 000000009D04: D86C0040 91000015
	ds_read_b32 v148, v21 offset:2176                          // 000000009D0C: D86C0880 94000015
	ds_read_b32 v149, v21 offset:2240                          // 000000009D14: D86C08C0 95000015
	ds_read_b32 v152, v21 offset:4352                          // 000000009D1C: D86C1100 98000015
	ds_read_b32 v153, v21 offset:4416                          // 000000009D24: D86C1140 99000015
	ds_read_b32 v156, v21 offset:6528                          // 000000009D2C: D86C1980 9C000015
	ds_read_b32 v157, v21 offset:6592                          // 000000009D34: D86C19C0 9D000015
	ds_read_b32 v160, v21 offset:8704                          // 000000009D3C: D86C2200 A0000015
	ds_read_b32 v161, v21 offset:8768                          // 000000009D44: D86C2240 A1000015
	ds_read_b32 v164, v21 offset:10880                         // 000000009D4C: D86C2A80 A4000015
	ds_read_b32 v165, v21 offset:10944                         // 000000009D54: D86C2AC0 A5000015
	ds_read_b32 v168, v21 offset:13056                         // 000000009D5C: D86C3300 A8000015
	ds_read_b32 v169, v21 offset:13120                         // 000000009D64: D86C3340 A9000015
	ds_read_b32 v172, v21 offset:15232                         // 000000009D6C: D86C3B80 AC000015
	ds_read_b32 v173, v21 offset:15296                         // 000000009D74: D86C3BC0 AD000015
	ds_read_b32 v176, v21 offset:17408                         // 000000009D7C: D86C4400 B0000015
	ds_read_b32 v177, v21 offset:17472                         // 000000009D84: D86C4440 B1000015
	ds_read_b32 v180, v21 offset:19584                         // 000000009D8C: D86C4C80 B4000015
	ds_read_b32 v181, v21 offset:19648                         // 000000009D94: D86C4CC0 B5000015
	ds_read_b32 v184, v21 offset:21760                         // 000000009D9C: D86C5500 B8000015
	ds_read_b32 v185, v21 offset:21824                         // 000000009DA4: D86C5540 B9000015
	ds_read_b32 v188, v21 offset:23936                         // 000000009DAC: D86C5D80 BC000015
	ds_read_b32 v189, v21 offset:24000                         // 000000009DB4: D86C5DC0 BD000015
	ds_read_b32 v192, v21 offset:26112                         // 000000009DBC: D86C6600 C0000015
	ds_read_b32 v193, v21 offset:26176                         // 000000009DC4: D86C6640 C1000015
	ds_read_b32 v196, v21 offset:28288                         // 000000009DCC: D86C6E80 C4000015
	ds_read_b32 v197, v21 offset:28352                         // 000000009DD4: D86C6EC0 C5000015
	ds_read_b32 v200, v21 offset:30464                         // 000000009DDC: D86C7700 C8000015
	ds_read_b32 v201, v21 offset:30528                         // 000000009DE4: D86C7740 C9000015
	ds_read_b32 v204, v21 offset:32640                         // 000000009DEC: D86C7F80 CC000015
	ds_read_b32 v205, v21 offset:32704                         // 000000009DF4: D86C7FC0 CD000015
	s_mul_i32 s60, s65, 4                                      // 000000009DFC: 923C8441
	s_add_u32 s8, s60, s8                                      // 000000009E00: 8008083C
	s_addc_u32 s9, 0, s9                                       // 000000009E04: 82090980
	s_waitcnt lgkmcnt(0)                                       // 000000009E08: BF8CC07F
	v_mov_b32_e32 v7, 0                                        // 000000009E0C: 7E0E0280
	s_mov_b64 exec, s[36:37]                                   // 000000009E10: BEFE0124
	v_mov_b32_e32 v6, v62                                      // 000000009E14: 7E0C033E
	s_mov_b64 s[60:61], 0                                      // 000000009E18: BEBC0180
	v_readlane_b32 s82, v3, 0                                  // 000000009E1C: D2890052 00010103
	s_and_b32 s82, s82, 0xffffff                               // 000000009E24: 8652FF52 00FFFFFF
	s_cmp_lt_u32 s82, s66                                      // 000000009E2C: BF0A4252
	s_cselect_b32 s20, s36, s60                                // 000000009E30: 85143C24
	v_readlane_b32 s82, v3, 1                                  // 000000009E34: D2890052 00010303
	s_and_b32 s82, s82, 0xffffff                               // 000000009E3C: 8652FF52 00FFFFFF
	s_cmp_lt_u32 s82, s66                                      // 000000009E44: BF0A4252
	s_cselect_b32 s21, s36, s60                                // 000000009E48: 85153C24
	s_mov_b64 exec, s[20:21]                                   // 000000009E4C: BEFE0114
	global_atomic_add_f32 v6, v144, s[8:9]                     // 000000009E50: DD348000 00089006
	global_atomic_add_f32 v6, v148, s[8:9] offset:256          // 000000009E58: DD348100 00089406
	s_mov_b64 exec, s[36:37]                                   // 000000009E60: BEFE0124
	v_mov_b32_e32 v6, v63                                      // 000000009E64: 7E0C033F
	s_mov_b64 s[60:61], 0                                      // 000000009E68: BEBC0180
	v_readlane_b32 s82, v3, 2                                  // 000000009E6C: D2890052 00010503
	s_and_b32 s82, s82, 0xffffff                               // 000000009E74: 8652FF52 00FFFFFF
	s_cmp_lt_u32 s82, s66                                      // 000000009E7C: BF0A4252
	s_cselect_b32 s20, s36, s60                                // 000000009E80: 85143C24
	v_readlane_b32 s82, v3, 3                                  // 000000009E84: D2890052 00010703
	s_and_b32 s82, s82, 0xffffff                               // 000000009E8C: 8652FF52 00FFFFFF
	s_cmp_lt_u32 s82, s66                                      // 000000009E94: BF0A4252
	s_cselect_b32 s21, s36, s60                                // 000000009E98: 85153C24
	s_mov_b64 exec, s[20:21]                                   // 000000009E9C: BEFE0114
	global_atomic_add_f32 v6, v145, s[8:9]                     // 000000009EA0: DD348000 00089106
	global_atomic_add_f32 v6, v149, s[8:9] offset:256          // 000000009EA8: DD348100 00089506
	s_mov_b64 exec, s[36:37]                                   // 000000009EB0: BEFE0124
	v_mov_b32_e32 v6, v64                                      // 000000009EB4: 7E0C0340
	s_mov_b64 s[60:61], 0                                      // 000000009EB8: BEBC0180
	v_readlane_b32 s82, v3, 4                                  // 000000009EBC: D2890052 00010903
	s_and_b32 s82, s82, 0xffffff                               // 000000009EC4: 8652FF52 00FFFFFF
	s_cmp_lt_u32 s82, s66                                      // 000000009ECC: BF0A4252
	s_cselect_b32 s20, s36, s60                                // 000000009ED0: 85143C24
	v_readlane_b32 s82, v3, 5                                  // 000000009ED4: D2890052 00010B03
	s_and_b32 s82, s82, 0xffffff                               // 000000009EDC: 8652FF52 00FFFFFF
	s_cmp_lt_u32 s82, s66                                      // 000000009EE4: BF0A4252
	s_cselect_b32 s21, s36, s60                                // 000000009EE8: 85153C24
	s_mov_b64 exec, s[20:21]                                   // 000000009EEC: BEFE0114
	global_atomic_add_f32 v6, v152, s[8:9]                     // 000000009EF0: DD348000 00089806
	global_atomic_add_f32 v6, v156, s[8:9] offset:256          // 000000009EF8: DD348100 00089C06
	s_mov_b64 exec, s[36:37]                                   // 000000009F00: BEFE0124
	v_mov_b32_e32 v6, v65                                      // 000000009F04: 7E0C0341
	s_mov_b64 s[60:61], 0                                      // 000000009F08: BEBC0180
	v_readlane_b32 s82, v3, 6                                  // 000000009F0C: D2890052 00010D03
	s_and_b32 s82, s82, 0xffffff                               // 000000009F14: 8652FF52 00FFFFFF
	s_cmp_lt_u32 s82, s66                                      // 000000009F1C: BF0A4252
	s_cselect_b32 s20, s36, s60                                // 000000009F20: 85143C24
	v_readlane_b32 s82, v3, 7                                  // 000000009F24: D2890052 00010F03
	s_and_b32 s82, s82, 0xffffff                               // 000000009F2C: 8652FF52 00FFFFFF
	s_cmp_lt_u32 s82, s66                                      // 000000009F34: BF0A4252
	s_cselect_b32 s21, s36, s60                                // 000000009F38: 85153C24
	s_mov_b64 exec, s[20:21]                                   // 000000009F3C: BEFE0114
	global_atomic_add_f32 v6, v153, s[8:9]                     // 000000009F40: DD348000 00089906
	global_atomic_add_f32 v6, v157, s[8:9] offset:256          // 000000009F48: DD348100 00089D06
	s_mov_b64 exec, s[36:37]                                   // 000000009F50: BEFE0124
	v_mov_b32_e32 v6, v66                                      // 000000009F54: 7E0C0342
	s_mov_b64 s[60:61], 0                                      // 000000009F58: BEBC0180
	v_readlane_b32 s82, v3, 8                                  // 000000009F5C: D2890052 00011103
	s_and_b32 s82, s82, 0xffffff                               // 000000009F64: 8652FF52 00FFFFFF
	s_cmp_lt_u32 s82, s66                                      // 000000009F6C: BF0A4252
	s_cselect_b32 s20, s36, s60                                // 000000009F70: 85143C24
	v_readlane_b32 s82, v3, 9                                  // 000000009F74: D2890052 00011303
	s_and_b32 s82, s82, 0xffffff                               // 000000009F7C: 8652FF52 00FFFFFF
	s_cmp_lt_u32 s82, s66                                      // 000000009F84: BF0A4252
	s_cselect_b32 s21, s36, s60                                // 000000009F88: 85153C24
	s_mov_b64 exec, s[20:21]                                   // 000000009F8C: BEFE0114
	global_atomic_add_f32 v6, v160, s[8:9]                     // 000000009F90: DD348000 0008A006
	global_atomic_add_f32 v6, v164, s[8:9] offset:256          // 000000009F98: DD348100 0008A406
	s_mov_b64 exec, s[36:37]                                   // 000000009FA0: BEFE0124
	v_mov_b32_e32 v6, v67                                      // 000000009FA4: 7E0C0343
	s_mov_b64 s[60:61], 0                                      // 000000009FA8: BEBC0180
	v_readlane_b32 s82, v3, 10                                 // 000000009FAC: D2890052 00011503
	s_and_b32 s82, s82, 0xffffff                               // 000000009FB4: 8652FF52 00FFFFFF
	s_cmp_lt_u32 s82, s66                                      // 000000009FBC: BF0A4252
	s_cselect_b32 s20, s36, s60                                // 000000009FC0: 85143C24
	v_readlane_b32 s82, v3, 11                                 // 000000009FC4: D2890052 00011703
	s_and_b32 s82, s82, 0xffffff                               // 000000009FCC: 8652FF52 00FFFFFF
	s_cmp_lt_u32 s82, s66                                      // 000000009FD4: BF0A4252
	s_cselect_b32 s21, s36, s60                                // 000000009FD8: 85153C24
	s_mov_b64 exec, s[20:21]                                   // 000000009FDC: BEFE0114
	global_atomic_add_f32 v6, v161, s[8:9]                     // 000000009FE0: DD348000 0008A106
	global_atomic_add_f32 v6, v165, s[8:9] offset:256          // 000000009FE8: DD348100 0008A506
	s_mov_b64 exec, s[36:37]                                   // 000000009FF0: BEFE0124
	v_mov_b32_e32 v6, v68                                      // 000000009FF4: 7E0C0344
	s_mov_b64 s[60:61], 0                                      // 000000009FF8: BEBC0180
	v_readlane_b32 s82, v3, 12                                 // 000000009FFC: D2890052 00011903
	s_and_b32 s82, s82, 0xffffff                               // 00000000A004: 8652FF52 00FFFFFF
	s_cmp_lt_u32 s82, s66                                      // 00000000A00C: BF0A4252
	s_cselect_b32 s20, s36, s60                                // 00000000A010: 85143C24
	v_readlane_b32 s82, v3, 13                                 // 00000000A014: D2890052 00011B03
	s_and_b32 s82, s82, 0xffffff                               // 00000000A01C: 8652FF52 00FFFFFF
	s_cmp_lt_u32 s82, s66                                      // 00000000A024: BF0A4252
	s_cselect_b32 s21, s36, s60                                // 00000000A028: 85153C24
	s_mov_b64 exec, s[20:21]                                   // 00000000A02C: BEFE0114
	global_atomic_add_f32 v6, v168, s[8:9]                     // 00000000A030: DD348000 0008A806
	global_atomic_add_f32 v6, v172, s[8:9] offset:256          // 00000000A038: DD348100 0008AC06
	s_mov_b64 exec, s[36:37]                                   // 00000000A040: BEFE0124
	v_mov_b32_e32 v6, v69                                      // 00000000A044: 7E0C0345
	s_mov_b64 s[60:61], 0                                      // 00000000A048: BEBC0180
	v_readlane_b32 s82, v3, 14                                 // 00000000A04C: D2890052 00011D03
	s_and_b32 s82, s82, 0xffffff                               // 00000000A054: 8652FF52 00FFFFFF
	s_cmp_lt_u32 s82, s66                                      // 00000000A05C: BF0A4252
	s_cselect_b32 s20, s36, s60                                // 00000000A060: 85143C24
	v_readlane_b32 s82, v3, 15                                 // 00000000A064: D2890052 00011F03
	s_and_b32 s82, s82, 0xffffff                               // 00000000A06C: 8652FF52 00FFFFFF
	s_cmp_lt_u32 s82, s66                                      // 00000000A074: BF0A4252
	s_cselect_b32 s21, s36, s60                                // 00000000A078: 85153C24
	s_mov_b64 exec, s[20:21]                                   // 00000000A07C: BEFE0114
	global_atomic_add_f32 v6, v169, s[8:9]                     // 00000000A080: DD348000 0008A906
	global_atomic_add_f32 v6, v173, s[8:9] offset:256          // 00000000A088: DD348100 0008AD06
	s_mov_b64 exec, s[36:37]                                   // 00000000A090: BEFE0124
	v_mov_b32_e32 v6, v70                                      // 00000000A094: 7E0C0346
	s_mov_b64 s[60:61], 0                                      // 00000000A098: BEBC0180
	v_readlane_b32 s82, v3, 16                                 // 00000000A09C: D2890052 00012103
	s_and_b32 s82, s82, 0xffffff                               // 00000000A0A4: 8652FF52 00FFFFFF
	s_cmp_lt_u32 s82, s66                                      // 00000000A0AC: BF0A4252
	s_cselect_b32 s20, s36, s60                                // 00000000A0B0: 85143C24
	v_readlane_b32 s82, v3, 17                                 // 00000000A0B4: D2890052 00012303
	s_and_b32 s82, s82, 0xffffff                               // 00000000A0BC: 8652FF52 00FFFFFF
	s_cmp_lt_u32 s82, s66                                      // 00000000A0C4: BF0A4252
	s_cselect_b32 s21, s36, s60                                // 00000000A0C8: 85153C24
	s_mov_b64 exec, s[20:21]                                   // 00000000A0CC: BEFE0114
	global_atomic_add_f32 v6, v176, s[8:9]                     // 00000000A0D0: DD348000 0008B006
	global_atomic_add_f32 v6, v180, s[8:9] offset:256          // 00000000A0D8: DD348100 0008B406
	s_mov_b64 exec, s[36:37]                                   // 00000000A0E0: BEFE0124
	v_mov_b32_e32 v6, v71                                      // 00000000A0E4: 7E0C0347
	s_mov_b64 s[60:61], 0                                      // 00000000A0E8: BEBC0180
	v_readlane_b32 s82, v3, 18                                 // 00000000A0EC: D2890052 00012503
	s_and_b32 s82, s82, 0xffffff                               // 00000000A0F4: 8652FF52 00FFFFFF
	s_cmp_lt_u32 s82, s66                                      // 00000000A0FC: BF0A4252
	s_cselect_b32 s20, s36, s60                                // 00000000A100: 85143C24
	v_readlane_b32 s82, v3, 19                                 // 00000000A104: D2890052 00012703
	s_and_b32 s82, s82, 0xffffff                               // 00000000A10C: 8652FF52 00FFFFFF
	s_cmp_lt_u32 s82, s66                                      // 00000000A114: BF0A4252
	s_cselect_b32 s21, s36, s60                                // 00000000A118: 85153C24
	s_mov_b64 exec, s[20:21]                                   // 00000000A11C: BEFE0114
	global_atomic_add_f32 v6, v177, s[8:9]                     // 00000000A120: DD348000 0008B106
	global_atomic_add_f32 v6, v181, s[8:9] offset:256          // 00000000A128: DD348100 0008B506
	s_mov_b64 exec, s[36:37]                                   // 00000000A130: BEFE0124
	v_mov_b32_e32 v6, v72                                      // 00000000A134: 7E0C0348
	s_mov_b64 s[60:61], 0                                      // 00000000A138: BEBC0180
	v_readlane_b32 s82, v3, 20                                 // 00000000A13C: D2890052 00012903
	s_and_b32 s82, s82, 0xffffff                               // 00000000A144: 8652FF52 00FFFFFF
	s_cmp_lt_u32 s82, s66                                      // 00000000A14C: BF0A4252
	s_cselect_b32 s20, s36, s60                                // 00000000A150: 85143C24
	v_readlane_b32 s82, v3, 21                                 // 00000000A154: D2890052 00012B03
	s_and_b32 s82, s82, 0xffffff                               // 00000000A15C: 8652FF52 00FFFFFF
	s_cmp_lt_u32 s82, s66                                      // 00000000A164: BF0A4252
	s_cselect_b32 s21, s36, s60                                // 00000000A168: 85153C24
	s_mov_b64 exec, s[20:21]                                   // 00000000A16C: BEFE0114
	global_atomic_add_f32 v6, v184, s[8:9]                     // 00000000A170: DD348000 0008B806
	global_atomic_add_f32 v6, v188, s[8:9] offset:256          // 00000000A178: DD348100 0008BC06
	s_mov_b64 exec, s[36:37]                                   // 00000000A180: BEFE0124
	v_mov_b32_e32 v6, v73                                      // 00000000A184: 7E0C0349
	s_mov_b64 s[60:61], 0                                      // 00000000A188: BEBC0180
	v_readlane_b32 s82, v3, 22                                 // 00000000A18C: D2890052 00012D03
	s_and_b32 s82, s82, 0xffffff                               // 00000000A194: 8652FF52 00FFFFFF
	s_cmp_lt_u32 s82, s66                                      // 00000000A19C: BF0A4252
	s_cselect_b32 s20, s36, s60                                // 00000000A1A0: 85143C24
	v_readlane_b32 s82, v3, 23                                 // 00000000A1A4: D2890052 00012F03
	s_and_b32 s82, s82, 0xffffff                               // 00000000A1AC: 8652FF52 00FFFFFF
	s_cmp_lt_u32 s82, s66                                      // 00000000A1B4: BF0A4252
	s_cselect_b32 s21, s36, s60                                // 00000000A1B8: 85153C24
	s_mov_b64 exec, s[20:21]                                   // 00000000A1BC: BEFE0114
	global_atomic_add_f32 v6, v185, s[8:9]                     // 00000000A1C0: DD348000 0008B906
	global_atomic_add_f32 v6, v189, s[8:9] offset:256          // 00000000A1C8: DD348100 0008BD06
	s_mov_b64 exec, s[36:37]                                   // 00000000A1D0: BEFE0124
	v_mov_b32_e32 v6, v74                                      // 00000000A1D4: 7E0C034A
	s_mov_b64 s[60:61], 0                                      // 00000000A1D8: BEBC0180
	v_readlane_b32 s82, v3, 24                                 // 00000000A1DC: D2890052 00013103
	s_and_b32 s82, s82, 0xffffff                               // 00000000A1E4: 8652FF52 00FFFFFF
	s_cmp_lt_u32 s82, s66                                      // 00000000A1EC: BF0A4252
	s_cselect_b32 s20, s36, s60                                // 00000000A1F0: 85143C24
	v_readlane_b32 s82, v3, 25                                 // 00000000A1F4: D2890052 00013303
	s_and_b32 s82, s82, 0xffffff                               // 00000000A1FC: 8652FF52 00FFFFFF
	s_cmp_lt_u32 s82, s66                                      // 00000000A204: BF0A4252
	s_cselect_b32 s21, s36, s60                                // 00000000A208: 85153C24
	s_mov_b64 exec, s[20:21]                                   // 00000000A20C: BEFE0114
	global_atomic_add_f32 v6, v192, s[8:9]                     // 00000000A210: DD348000 0008C006
	global_atomic_add_f32 v6, v196, s[8:9] offset:256          // 00000000A218: DD348100 0008C406
	s_mov_b64 exec, s[36:37]                                   // 00000000A220: BEFE0124
	v_mov_b32_e32 v6, v75                                      // 00000000A224: 7E0C034B
	s_mov_b64 s[60:61], 0                                      // 00000000A228: BEBC0180
	v_readlane_b32 s82, v3, 26                                 // 00000000A22C: D2890052 00013503
	s_and_b32 s82, s82, 0xffffff                               // 00000000A234: 8652FF52 00FFFFFF
	s_cmp_lt_u32 s82, s66                                      // 00000000A23C: BF0A4252
	s_cselect_b32 s20, s36, s60                                // 00000000A240: 85143C24
	v_readlane_b32 s82, v3, 27                                 // 00000000A244: D2890052 00013703
	s_and_b32 s82, s82, 0xffffff                               // 00000000A24C: 8652FF52 00FFFFFF
	s_cmp_lt_u32 s82, s66                                      // 00000000A254: BF0A4252
	s_cselect_b32 s21, s36, s60                                // 00000000A258: 85153C24
	s_mov_b64 exec, s[20:21]                                   // 00000000A25C: BEFE0114
	global_atomic_add_f32 v6, v193, s[8:9]                     // 00000000A260: DD348000 0008C106
	global_atomic_add_f32 v6, v197, s[8:9] offset:256          // 00000000A268: DD348100 0008C506
	s_mov_b64 exec, s[36:37]                                   // 00000000A270: BEFE0124
	v_mov_b32_e32 v6, v76                                      // 00000000A274: 7E0C034C
	s_mov_b64 s[60:61], 0                                      // 00000000A278: BEBC0180
	v_readlane_b32 s82, v3, 28                                 // 00000000A27C: D2890052 00013903
	s_and_b32 s82, s82, 0xffffff                               // 00000000A284: 8652FF52 00FFFFFF
	s_cmp_lt_u32 s82, s66                                      // 00000000A28C: BF0A4252
	s_cselect_b32 s20, s36, s60                                // 00000000A290: 85143C24
	v_readlane_b32 s82, v3, 29                                 // 00000000A294: D2890052 00013B03
	s_and_b32 s82, s82, 0xffffff                               // 00000000A29C: 8652FF52 00FFFFFF
	s_cmp_lt_u32 s82, s66                                      // 00000000A2A4: BF0A4252
	s_cselect_b32 s21, s36, s60                                // 00000000A2A8: 85153C24
	s_mov_b64 exec, s[20:21]                                   // 00000000A2AC: BEFE0114
	global_atomic_add_f32 v6, v200, s[8:9]                     // 00000000A2B0: DD348000 0008C806
	global_atomic_add_f32 v6, v204, s[8:9] offset:256          // 00000000A2B8: DD348100 0008CC06
	s_mov_b64 exec, s[36:37]                                   // 00000000A2C0: BEFE0124
	v_mov_b32_e32 v6, v77                                      // 00000000A2C4: 7E0C034D
	s_mov_b64 s[60:61], 0                                      // 00000000A2C8: BEBC0180
	v_readlane_b32 s82, v3, 30                                 // 00000000A2CC: D2890052 00013D03
	s_and_b32 s82, s82, 0xffffff                               // 00000000A2D4: 8652FF52 00FFFFFF
	s_cmp_lt_u32 s82, s66                                      // 00000000A2DC: BF0A4252
	s_cselect_b32 s20, s36, s60                                // 00000000A2E0: 85143C24
	v_readlane_b32 s82, v3, 31                                 // 00000000A2E4: D2890052 00013F03
	s_and_b32 s82, s82, 0xffffff                               // 00000000A2EC: 8652FF52 00FFFFFF
	s_cmp_lt_u32 s82, s66                                      // 00000000A2F4: BF0A4252
	s_cselect_b32 s21, s36, s60                                // 00000000A2F8: 85153C24
	s_mov_b64 exec, s[20:21]                                   // 00000000A2FC: BEFE0114
	global_atomic_add_f32 v6, v201, s[8:9]                     // 00000000A300: DD348000 0008C906
	global_atomic_add_f32 v6, v205, s[8:9] offset:256          // 00000000A308: DD348100 0008CD06
	s_mov_b64 exec, s[36:37]                                   // 00000000A310: BEFE0124
	ds_write_b64 v20, v[146:147]                               // 00000000A314: D89A0000 00009214
	ds_write_b64 v20, v[150:151] offset:4352                   // 00000000A31C: D89A1100 00009614
	ds_write_b64 v20, v[154:155] offset:8704                   // 00000000A324: D89A2200 00009A14
	ds_write_b64 v20, v[158:159] offset:13056                  // 00000000A32C: D89A3300 00009E14
	ds_write_b64 v20, v[162:163] offset:17408                  // 00000000A334: D89A4400 0000A214
	ds_write_b64 v20, v[166:167] offset:21760                  // 00000000A33C: D89A5500 0000A614
	ds_write_b64 v20, v[170:171] offset:26112                  // 00000000A344: D89A6600 0000AA14
	ds_write_b64 v20, v[174:175] offset:30464                  // 00000000A34C: D89A7700 0000AE14
	ds_write_b64 v20, v[178:179] offset:2176                   // 00000000A354: D89A0880 0000B214
	ds_write_b64 v20, v[182:183] offset:6528                   // 00000000A35C: D89A1980 0000B614
	ds_write_b64 v20, v[186:187] offset:10880                  // 00000000A364: D89A2A80 0000BA14
	ds_write_b64 v20, v[190:191] offset:15232                  // 00000000A36C: D89A3B80 0000BE14
	ds_write_b64 v20, v[194:195] offset:19584                  // 00000000A374: D89A4C80 0000C214
	ds_write_b64 v20, v[198:199] offset:23936                  // 00000000A37C: D89A5D80 0000C614
	ds_write_b64 v20, v[202:203] offset:28288                  // 00000000A384: D89A6E80 0000CA14
	ds_write_b64 v20, v[206:207] offset:32640                  // 00000000A38C: D89A7F80 0000CE14
	s_waitcnt lgkmcnt(0)                                       // 00000000A394: BF8CC07F
	s_barrier                                                  // 00000000A398: BF8A0000
	ds_read_b32 v146, v21                                      // 00000000A39C: D86C0000 92000015
	ds_read_b32 v147, v21 offset:64                            // 00000000A3A4: D86C0040 93000015
	ds_read_b32 v150, v21 offset:2176                          // 00000000A3AC: D86C0880 96000015
	ds_read_b32 v151, v21 offset:2240                          // 00000000A3B4: D86C08C0 97000015
	ds_read_b32 v154, v21 offset:4352                          // 00000000A3BC: D86C1100 9A000015
	ds_read_b32 v155, v21 offset:4416                          // 00000000A3C4: D86C1140 9B000015
	ds_read_b32 v158, v21 offset:6528                          // 00000000A3CC: D86C1980 9E000015
	ds_read_b32 v159, v21 offset:6592                          // 00000000A3D4: D86C19C0 9F000015
	ds_read_b32 v162, v21 offset:8704                          // 00000000A3DC: D86C2200 A2000015
	ds_read_b32 v163, v21 offset:8768                          // 00000000A3E4: D86C2240 A3000015
	ds_read_b32 v166, v21 offset:10880                         // 00000000A3EC: D86C2A80 A6000015
	ds_read_b32 v167, v21 offset:10944                         // 00000000A3F4: D86C2AC0 A7000015
	ds_read_b32 v170, v21 offset:13056                         // 00000000A3FC: D86C3300 AA000015
	ds_read_b32 v171, v21 offset:13120                         // 00000000A404: D86C3340 AB000015
	ds_read_b32 v174, v21 offset:15232                         // 00000000A40C: D86C3B80 AE000015
	ds_read_b32 v175, v21 offset:15296                         // 00000000A414: D86C3BC0 AF000015
	ds_read_b32 v178, v21 offset:17408                         // 00000000A41C: D86C4400 B2000015
	ds_read_b32 v179, v21 offset:17472                         // 00000000A424: D86C4440 B3000015
	ds_read_b32 v182, v21 offset:19584                         // 00000000A42C: D86C4C80 B6000015
	ds_read_b32 v183, v21 offset:19648                         // 00000000A434: D86C4CC0 B7000015
	ds_read_b32 v186, v21 offset:21760                         // 00000000A43C: D86C5500 BA000015
	ds_read_b32 v187, v21 offset:21824                         // 00000000A444: D86C5540 BB000015
	ds_read_b32 v190, v21 offset:23936                         // 00000000A44C: D86C5D80 BE000015
	ds_read_b32 v191, v21 offset:24000                         // 00000000A454: D86C5DC0 BF000015
	ds_read_b32 v194, v21 offset:26112                         // 00000000A45C: D86C6600 C2000015
	ds_read_b32 v195, v21 offset:26176                         // 00000000A464: D86C6640 C3000015
	ds_read_b32 v198, v21 offset:28288                         // 00000000A46C: D86C6E80 C6000015
	ds_read_b32 v199, v21 offset:28352                         // 00000000A474: D86C6EC0 C7000015
	ds_read_b32 v202, v21 offset:30464                         // 00000000A47C: D86C7700 CA000015
	ds_read_b32 v203, v21 offset:30528                         // 00000000A484: D86C7740 CB000015
	ds_read_b32 v206, v21 offset:32640                         // 00000000A48C: D86C7F80 CE000015
	ds_read_b32 v207, v21 offset:32704                         // 00000000A494: D86C7FC0 CF000015
	s_waitcnt lgkmcnt(0)                                       // 00000000A49C: BF8CC07F
	v_mov_b32_e32 v7, 0                                        // 00000000A4A0: 7E0E0280
	s_mov_b64 exec, s[36:37]                                   // 00000000A4A4: BEFE0124
	v_mov_b32_e32 v6, v62                                      // 00000000A4A8: 7E0C033E
	s_mov_b64 s[60:61], 0                                      // 00000000A4AC: BEBC0180
	v_readlane_b32 s82, v3, 0                                  // 00000000A4B0: D2890052 00010103
	s_and_b32 s82, s82, 0xffffff                               // 00000000A4B8: 8652FF52 00FFFFFF
	s_cmp_lt_u32 s82, s66                                      // 00000000A4C0: BF0A4252
	s_cselect_b32 s20, s36, s60                                // 00000000A4C4: 85143C24
	v_readlane_b32 s82, v3, 1                                  // 00000000A4C8: D2890052 00010303
	s_and_b32 s82, s82, 0xffffff                               // 00000000A4D0: 8652FF52 00FFFFFF
	s_cmp_lt_u32 s82, s66                                      // 00000000A4D8: BF0A4252
	s_cselect_b32 s21, s36, s60                                // 00000000A4DC: 85153C24
	s_mov_b64 exec, s[20:21]                                   // 00000000A4E0: BEFE0114
	global_atomic_add_f32 v6, v146, s[8:9] offset:8            // 00000000A4E4: DD348008 00089206
	global_atomic_add_f32 v6, v150, s[8:9] offset:264          // 00000000A4EC: DD348108 00089606
	s_mov_b64 exec, s[36:37]                                   // 00000000A4F4: BEFE0124
	v_mov_b32_e32 v6, v63                                      // 00000000A4F8: 7E0C033F
	s_mov_b64 s[60:61], 0                                      // 00000000A4FC: BEBC0180
	v_readlane_b32 s82, v3, 2                                  // 00000000A500: D2890052 00010503
	s_and_b32 s82, s82, 0xffffff                               // 00000000A508: 8652FF52 00FFFFFF
	s_cmp_lt_u32 s82, s66                                      // 00000000A510: BF0A4252
	s_cselect_b32 s20, s36, s60                                // 00000000A514: 85143C24
	v_readlane_b32 s82, v3, 3                                  // 00000000A518: D2890052 00010703
	s_and_b32 s82, s82, 0xffffff                               // 00000000A520: 8652FF52 00FFFFFF
	s_cmp_lt_u32 s82, s66                                      // 00000000A528: BF0A4252
	s_cselect_b32 s21, s36, s60                                // 00000000A52C: 85153C24
	s_mov_b64 exec, s[20:21]                                   // 00000000A530: BEFE0114
	global_atomic_add_f32 v6, v147, s[8:9] offset:8            // 00000000A534: DD348008 00089306
	global_atomic_add_f32 v6, v151, s[8:9] offset:264          // 00000000A53C: DD348108 00089706
	s_mov_b64 exec, s[36:37]                                   // 00000000A544: BEFE0124
	v_mov_b32_e32 v6, v64                                      // 00000000A548: 7E0C0340
	s_mov_b64 s[60:61], 0                                      // 00000000A54C: BEBC0180
	v_readlane_b32 s82, v3, 4                                  // 00000000A550: D2890052 00010903
	s_and_b32 s82, s82, 0xffffff                               // 00000000A558: 8652FF52 00FFFFFF
	s_cmp_lt_u32 s82, s66                                      // 00000000A560: BF0A4252
	s_cselect_b32 s20, s36, s60                                // 00000000A564: 85143C24
	v_readlane_b32 s82, v3, 5                                  // 00000000A568: D2890052 00010B03
	s_and_b32 s82, s82, 0xffffff                               // 00000000A570: 8652FF52 00FFFFFF
	s_cmp_lt_u32 s82, s66                                      // 00000000A578: BF0A4252
	s_cselect_b32 s21, s36, s60                                // 00000000A57C: 85153C24
	s_mov_b64 exec, s[20:21]                                   // 00000000A580: BEFE0114
	global_atomic_add_f32 v6, v154, s[8:9] offset:8            // 00000000A584: DD348008 00089A06
	global_atomic_add_f32 v6, v158, s[8:9] offset:264          // 00000000A58C: DD348108 00089E06
	s_mov_b64 exec, s[36:37]                                   // 00000000A594: BEFE0124
	v_mov_b32_e32 v6, v65                                      // 00000000A598: 7E0C0341
	s_mov_b64 s[60:61], 0                                      // 00000000A59C: BEBC0180
	v_readlane_b32 s82, v3, 6                                  // 00000000A5A0: D2890052 00010D03
	s_and_b32 s82, s82, 0xffffff                               // 00000000A5A8: 8652FF52 00FFFFFF
	s_cmp_lt_u32 s82, s66                                      // 00000000A5B0: BF0A4252
	s_cselect_b32 s20, s36, s60                                // 00000000A5B4: 85143C24
	v_readlane_b32 s82, v3, 7                                  // 00000000A5B8: D2890052 00010F03
	s_and_b32 s82, s82, 0xffffff                               // 00000000A5C0: 8652FF52 00FFFFFF
	s_cmp_lt_u32 s82, s66                                      // 00000000A5C8: BF0A4252
	s_cselect_b32 s21, s36, s60                                // 00000000A5CC: 85153C24
	s_mov_b64 exec, s[20:21]                                   // 00000000A5D0: BEFE0114
	global_atomic_add_f32 v6, v155, s[8:9] offset:8            // 00000000A5D4: DD348008 00089B06
	global_atomic_add_f32 v6, v159, s[8:9] offset:264          // 00000000A5DC: DD348108 00089F06
	s_mov_b64 exec, s[36:37]                                   // 00000000A5E4: BEFE0124
	v_mov_b32_e32 v6, v66                                      // 00000000A5E8: 7E0C0342
	s_mov_b64 s[60:61], 0                                      // 00000000A5EC: BEBC0180
	v_readlane_b32 s82, v3, 8                                  // 00000000A5F0: D2890052 00011103
	s_and_b32 s82, s82, 0xffffff                               // 00000000A5F8: 8652FF52 00FFFFFF
	s_cmp_lt_u32 s82, s66                                      // 00000000A600: BF0A4252
	s_cselect_b32 s20, s36, s60                                // 00000000A604: 85143C24
	v_readlane_b32 s82, v3, 9                                  // 00000000A608: D2890052 00011303
	s_and_b32 s82, s82, 0xffffff                               // 00000000A610: 8652FF52 00FFFFFF
	s_cmp_lt_u32 s82, s66                                      // 00000000A618: BF0A4252
	s_cselect_b32 s21, s36, s60                                // 00000000A61C: 85153C24
	s_mov_b64 exec, s[20:21]                                   // 00000000A620: BEFE0114
	global_atomic_add_f32 v6, v162, s[8:9] offset:8            // 00000000A624: DD348008 0008A206
	global_atomic_add_f32 v6, v166, s[8:9] offset:264          // 00000000A62C: DD348108 0008A606
	s_mov_b64 exec, s[36:37]                                   // 00000000A634: BEFE0124
	v_mov_b32_e32 v6, v67                                      // 00000000A638: 7E0C0343
	s_mov_b64 s[60:61], 0                                      // 00000000A63C: BEBC0180
	v_readlane_b32 s82, v3, 10                                 // 00000000A640: D2890052 00011503
	s_and_b32 s82, s82, 0xffffff                               // 00000000A648: 8652FF52 00FFFFFF
	s_cmp_lt_u32 s82, s66                                      // 00000000A650: BF0A4252
	s_cselect_b32 s20, s36, s60                                // 00000000A654: 85143C24
	v_readlane_b32 s82, v3, 11                                 // 00000000A658: D2890052 00011703
	s_and_b32 s82, s82, 0xffffff                               // 00000000A660: 8652FF52 00FFFFFF
	s_cmp_lt_u32 s82, s66                                      // 00000000A668: BF0A4252
	s_cselect_b32 s21, s36, s60                                // 00000000A66C: 85153C24
	s_mov_b64 exec, s[20:21]                                   // 00000000A670: BEFE0114
	global_atomic_add_f32 v6, v163, s[8:9] offset:8            // 00000000A674: DD348008 0008A306
	global_atomic_add_f32 v6, v167, s[8:9] offset:264          // 00000000A67C: DD348108 0008A706
	s_mov_b64 exec, s[36:37]                                   // 00000000A684: BEFE0124
	v_mov_b32_e32 v6, v68                                      // 00000000A688: 7E0C0344
	s_mov_b64 s[60:61], 0                                      // 00000000A68C: BEBC0180
	v_readlane_b32 s82, v3, 12                                 // 00000000A690: D2890052 00011903
	s_and_b32 s82, s82, 0xffffff                               // 00000000A698: 8652FF52 00FFFFFF
	s_cmp_lt_u32 s82, s66                                      // 00000000A6A0: BF0A4252
	s_cselect_b32 s20, s36, s60                                // 00000000A6A4: 85143C24
	v_readlane_b32 s82, v3, 13                                 // 00000000A6A8: D2890052 00011B03
	s_and_b32 s82, s82, 0xffffff                               // 00000000A6B0: 8652FF52 00FFFFFF
	s_cmp_lt_u32 s82, s66                                      // 00000000A6B8: BF0A4252
	s_cselect_b32 s21, s36, s60                                // 00000000A6BC: 85153C24
	s_mov_b64 exec, s[20:21]                                   // 00000000A6C0: BEFE0114
	global_atomic_add_f32 v6, v170, s[8:9] offset:8            // 00000000A6C4: DD348008 0008AA06
	global_atomic_add_f32 v6, v174, s[8:9] offset:264          // 00000000A6CC: DD348108 0008AE06
	s_mov_b64 exec, s[36:37]                                   // 00000000A6D4: BEFE0124
	v_mov_b32_e32 v6, v69                                      // 00000000A6D8: 7E0C0345
	s_mov_b64 s[60:61], 0                                      // 00000000A6DC: BEBC0180
	v_readlane_b32 s82, v3, 14                                 // 00000000A6E0: D2890052 00011D03
	s_and_b32 s82, s82, 0xffffff                               // 00000000A6E8: 8652FF52 00FFFFFF
	s_cmp_lt_u32 s82, s66                                      // 00000000A6F0: BF0A4252
	s_cselect_b32 s20, s36, s60                                // 00000000A6F4: 85143C24
	v_readlane_b32 s82, v3, 15                                 // 00000000A6F8: D2890052 00011F03
	s_and_b32 s82, s82, 0xffffff                               // 00000000A700: 8652FF52 00FFFFFF
	s_cmp_lt_u32 s82, s66                                      // 00000000A708: BF0A4252
	s_cselect_b32 s21, s36, s60                                // 00000000A70C: 85153C24
	s_mov_b64 exec, s[20:21]                                   // 00000000A710: BEFE0114
	global_atomic_add_f32 v6, v171, s[8:9] offset:8            // 00000000A714: DD348008 0008AB06
	global_atomic_add_f32 v6, v175, s[8:9] offset:264          // 00000000A71C: DD348108 0008AF06
	s_mov_b64 exec, s[36:37]                                   // 00000000A724: BEFE0124
	v_mov_b32_e32 v6, v70                                      // 00000000A728: 7E0C0346
	s_mov_b64 s[60:61], 0                                      // 00000000A72C: BEBC0180
	v_readlane_b32 s82, v3, 16                                 // 00000000A730: D2890052 00012103
	s_and_b32 s82, s82, 0xffffff                               // 00000000A738: 8652FF52 00FFFFFF
	s_cmp_lt_u32 s82, s66                                      // 00000000A740: BF0A4252
	s_cselect_b32 s20, s36, s60                                // 00000000A744: 85143C24
	v_readlane_b32 s82, v3, 17                                 // 00000000A748: D2890052 00012303
	s_and_b32 s82, s82, 0xffffff                               // 00000000A750: 8652FF52 00FFFFFF
	s_cmp_lt_u32 s82, s66                                      // 00000000A758: BF0A4252
	s_cselect_b32 s21, s36, s60                                // 00000000A75C: 85153C24
	s_mov_b64 exec, s[20:21]                                   // 00000000A760: BEFE0114
	global_atomic_add_f32 v6, v178, s[8:9] offset:8            // 00000000A764: DD348008 0008B206
	global_atomic_add_f32 v6, v182, s[8:9] offset:264          // 00000000A76C: DD348108 0008B606
	s_mov_b64 exec, s[36:37]                                   // 00000000A774: BEFE0124
	v_mov_b32_e32 v6, v71                                      // 00000000A778: 7E0C0347
	s_mov_b64 s[60:61], 0                                      // 00000000A77C: BEBC0180
	v_readlane_b32 s82, v3, 18                                 // 00000000A780: D2890052 00012503
	s_and_b32 s82, s82, 0xffffff                               // 00000000A788: 8652FF52 00FFFFFF
	s_cmp_lt_u32 s82, s66                                      // 00000000A790: BF0A4252
	s_cselect_b32 s20, s36, s60                                // 00000000A794: 85143C24
	v_readlane_b32 s82, v3, 19                                 // 00000000A798: D2890052 00012703
	s_and_b32 s82, s82, 0xffffff                               // 00000000A7A0: 8652FF52 00FFFFFF
	s_cmp_lt_u32 s82, s66                                      // 00000000A7A8: BF0A4252
	s_cselect_b32 s21, s36, s60                                // 00000000A7AC: 85153C24
	s_mov_b64 exec, s[20:21]                                   // 00000000A7B0: BEFE0114
	global_atomic_add_f32 v6, v179, s[8:9] offset:8            // 00000000A7B4: DD348008 0008B306
	global_atomic_add_f32 v6, v183, s[8:9] offset:264          // 00000000A7BC: DD348108 0008B706
	s_mov_b64 exec, s[36:37]                                   // 00000000A7C4: BEFE0124
	v_mov_b32_e32 v6, v72                                      // 00000000A7C8: 7E0C0348
	s_mov_b64 s[60:61], 0                                      // 00000000A7CC: BEBC0180
	v_readlane_b32 s82, v3, 20                                 // 00000000A7D0: D2890052 00012903
	s_and_b32 s82, s82, 0xffffff                               // 00000000A7D8: 8652FF52 00FFFFFF
	s_cmp_lt_u32 s82, s66                                      // 00000000A7E0: BF0A4252
	s_cselect_b32 s20, s36, s60                                // 00000000A7E4: 85143C24
	v_readlane_b32 s82, v3, 21                                 // 00000000A7E8: D2890052 00012B03
	s_and_b32 s82, s82, 0xffffff                               // 00000000A7F0: 8652FF52 00FFFFFF
	s_cmp_lt_u32 s82, s66                                      // 00000000A7F8: BF0A4252
	s_cselect_b32 s21, s36, s60                                // 00000000A7FC: 85153C24
	s_mov_b64 exec, s[20:21]                                   // 00000000A800: BEFE0114
	global_atomic_add_f32 v6, v186, s[8:9] offset:8            // 00000000A804: DD348008 0008BA06
	global_atomic_add_f32 v6, v190, s[8:9] offset:264          // 00000000A80C: DD348108 0008BE06
	s_mov_b64 exec, s[36:37]                                   // 00000000A814: BEFE0124
	v_mov_b32_e32 v6, v73                                      // 00000000A818: 7E0C0349
	s_mov_b64 s[60:61], 0                                      // 00000000A81C: BEBC0180
	v_readlane_b32 s82, v3, 22                                 // 00000000A820: D2890052 00012D03
	s_and_b32 s82, s82, 0xffffff                               // 00000000A828: 8652FF52 00FFFFFF
	s_cmp_lt_u32 s82, s66                                      // 00000000A830: BF0A4252
	s_cselect_b32 s20, s36, s60                                // 00000000A834: 85143C24
	v_readlane_b32 s82, v3, 23                                 // 00000000A838: D2890052 00012F03
	s_and_b32 s82, s82, 0xffffff                               // 00000000A840: 8652FF52 00FFFFFF
	s_cmp_lt_u32 s82, s66                                      // 00000000A848: BF0A4252
	s_cselect_b32 s21, s36, s60                                // 00000000A84C: 85153C24
	s_mov_b64 exec, s[20:21]                                   // 00000000A850: BEFE0114
	global_atomic_add_f32 v6, v187, s[8:9] offset:8            // 00000000A854: DD348008 0008BB06
	global_atomic_add_f32 v6, v191, s[8:9] offset:264          // 00000000A85C: DD348108 0008BF06
	s_mov_b64 exec, s[36:37]                                   // 00000000A864: BEFE0124
	v_mov_b32_e32 v6, v74                                      // 00000000A868: 7E0C034A
	s_mov_b64 s[60:61], 0                                      // 00000000A86C: BEBC0180
	v_readlane_b32 s82, v3, 24                                 // 00000000A870: D2890052 00013103
	s_and_b32 s82, s82, 0xffffff                               // 00000000A878: 8652FF52 00FFFFFF
	s_cmp_lt_u32 s82, s66                                      // 00000000A880: BF0A4252
	s_cselect_b32 s20, s36, s60                                // 00000000A884: 85143C24
	v_readlane_b32 s82, v3, 25                                 // 00000000A888: D2890052 00013303
	s_and_b32 s82, s82, 0xffffff                               // 00000000A890: 8652FF52 00FFFFFF
	s_cmp_lt_u32 s82, s66                                      // 00000000A898: BF0A4252
	s_cselect_b32 s21, s36, s60                                // 00000000A89C: 85153C24
	s_mov_b64 exec, s[20:21]                                   // 00000000A8A0: BEFE0114
	global_atomic_add_f32 v6, v194, s[8:9] offset:8            // 00000000A8A4: DD348008 0008C206
	global_atomic_add_f32 v6, v198, s[8:9] offset:264          // 00000000A8AC: DD348108 0008C606
	s_mov_b64 exec, s[36:37]                                   // 00000000A8B4: BEFE0124
	v_mov_b32_e32 v6, v75                                      // 00000000A8B8: 7E0C034B
	s_mov_b64 s[60:61], 0                                      // 00000000A8BC: BEBC0180
	v_readlane_b32 s82, v3, 26                                 // 00000000A8C0: D2890052 00013503
	s_and_b32 s82, s82, 0xffffff                               // 00000000A8C8: 8652FF52 00FFFFFF
	s_cmp_lt_u32 s82, s66                                      // 00000000A8D0: BF0A4252
	s_cselect_b32 s20, s36, s60                                // 00000000A8D4: 85143C24
	v_readlane_b32 s82, v3, 27                                 // 00000000A8D8: D2890052 00013703
	s_and_b32 s82, s82, 0xffffff                               // 00000000A8E0: 8652FF52 00FFFFFF
	s_cmp_lt_u32 s82, s66                                      // 00000000A8E8: BF0A4252
	s_cselect_b32 s21, s36, s60                                // 00000000A8EC: 85153C24
	s_mov_b64 exec, s[20:21]                                   // 00000000A8F0: BEFE0114
	global_atomic_add_f32 v6, v195, s[8:9] offset:8            // 00000000A8F4: DD348008 0008C306
	global_atomic_add_f32 v6, v199, s[8:9] offset:264          // 00000000A8FC: DD348108 0008C706
	s_mov_b64 exec, s[36:37]                                   // 00000000A904: BEFE0124
	v_mov_b32_e32 v6, v76                                      // 00000000A908: 7E0C034C
	s_mov_b64 s[60:61], 0                                      // 00000000A90C: BEBC0180
	v_readlane_b32 s82, v3, 28                                 // 00000000A910: D2890052 00013903
	s_and_b32 s82, s82, 0xffffff                               // 00000000A918: 8652FF52 00FFFFFF
	s_cmp_lt_u32 s82, s66                                      // 00000000A920: BF0A4252
	s_cselect_b32 s20, s36, s60                                // 00000000A924: 85143C24
	v_readlane_b32 s82, v3, 29                                 // 00000000A928: D2890052 00013B03
	s_and_b32 s82, s82, 0xffffff                               // 00000000A930: 8652FF52 00FFFFFF
	s_cmp_lt_u32 s82, s66                                      // 00000000A938: BF0A4252
	s_cselect_b32 s21, s36, s60                                // 00000000A93C: 85153C24
	s_mov_b64 exec, s[20:21]                                   // 00000000A940: BEFE0114
	global_atomic_add_f32 v6, v202, s[8:9] offset:8            // 00000000A944: DD348008 0008CA06
	global_atomic_add_f32 v6, v206, s[8:9] offset:264          // 00000000A94C: DD348108 0008CE06
	s_mov_b64 exec, s[36:37]                                   // 00000000A954: BEFE0124
	v_mov_b32_e32 v6, v77                                      // 00000000A958: 7E0C034D
	s_mov_b64 s[60:61], 0                                      // 00000000A95C: BEBC0180
	v_readlane_b32 s82, v3, 30                                 // 00000000A960: D2890052 00013D03
	s_and_b32 s82, s82, 0xffffff                               // 00000000A968: 8652FF52 00FFFFFF
	s_cmp_lt_u32 s82, s66                                      // 00000000A970: BF0A4252
	s_cselect_b32 s20, s36, s60                                // 00000000A974: 85143C24
	v_readlane_b32 s82, v3, 31                                 // 00000000A978: D2890052 00013F03
	s_and_b32 s82, s82, 0xffffff                               // 00000000A980: 8652FF52 00FFFFFF
	s_cmp_lt_u32 s82, s66                                      // 00000000A988: BF0A4252
	s_cselect_b32 s21, s36, s60                                // 00000000A98C: 85153C24
	s_mov_b64 exec, s[20:21]                                   // 00000000A990: BEFE0114
	global_atomic_add_f32 v6, v203, s[8:9] offset:8            // 00000000A994: DD348008 0008CB06
	global_atomic_add_f32 v6, v207, s[8:9] offset:264          // 00000000A99C: DD348108 0008CF06
	s_mov_b64 exec, s[36:37]                                   // 00000000A9A4: BEFE0124
	s_branch label_3C1E                                        // 00000000A9A8: BF821C30

000000000000a9ac <label_1FEE>:
	s_waitcnt vmcnt(20) lgkmcnt(0)                             // 00000000A9AC: BF8C4074
	v_mfma_f32_16x16x32_fp8_fp8 v[80:83], a[128:129], a[0:1], v[80:83]// 00000000A9B0: D3F30050 1D420180
	buffer_load_dwordx4 a[160:163], v78, s[24:27], 0 offen     // 00000000A9B8: E05C1000 8086A04E
	v_mfma_f32_16x16x32_fp8_fp8 v[80:83], a[130:131], a[2:3], v[80:83]// 00000000A9C0: D3F30050 1D420582
	v_mfma_f32_16x16x32_fp8_fp8 v[80:83], a[132:133], a[4:5], v[80:83]// 00000000A9C8: D3F30050 1D420984
	v_mfma_f32_16x16x32_fp8_fp8 v[80:83], a[134:135], a[6:7], v[80:83]// 00000000A9D0: D3F30050 1D420D86
	v_mfma_f32_16x16x32_fp8_fp8 v[112:115], a[136:137], a[0:1], v[112:115]// 00000000A9D8: D3F30070 1DC20188
	buffer_load_dwordx4 a[164:167], v78, s[24:27], 0 offen offset:1024// 00000000A9E0: E05C1400 8086A44E
	v_mfma_f32_16x16x32_fp8_fp8 v[112:115], a[138:139], a[2:3], v[112:115]// 00000000A9E8: D3F30070 1DC2058A
	v_mfma_f32_16x16x32_fp8_fp8 v[112:115], a[140:141], a[4:5], v[112:115]// 00000000A9F0: D3F30070 1DC2098C
	v_mfma_f32_16x16x32_fp8_fp8 v[112:115], a[142:143], a[6:7], v[112:115]// 00000000A9F8: D3F30070 1DC20D8E
	v_mfma_f32_16x16x32_fp8_fp8 v[84:87], a[128:129], a[8:9], v[84:87]// 00000000AA00: D3F30054 1D521180
	buffer_load_dwordx4 a[168:171], v79, s[24:27], 0 offen     // 00000000AA08: E05C1000 8086A84F
	v_mfma_f32_16x16x32_fp8_fp8 v[84:87], a[130:131], a[10:11], v[84:87]// 00000000AA10: D3F30054 1D521582
	v_mfma_f32_16x16x32_fp8_fp8 v[84:87], a[132:133], a[12:13], v[84:87]// 00000000AA18: D3F30054 1D521984
	v_mfma_f32_16x16x32_fp8_fp8 v[84:87], a[134:135], a[14:15], v[84:87]// 00000000AA20: D3F30054 1D521D86
	v_mfma_f32_16x16x32_fp8_fp8 v[116:119], a[136:137], a[8:9], v[116:119]// 00000000AA28: D3F30074 1DD21188
	buffer_load_dwordx4 a[172:175], v79, s[24:27], 0 offen offset:1024// 00000000AA30: E05C1400 8086AC4F
	buffer_load_dword v62, s[20:23], 0 offen lds               // 00000000AA38: E0511000 8005003E
	s_add_u32 m0, 0x100, s50                                   // 00000000AA40: 807C32FF 00000100
	v_mfma_f32_16x16x32_fp8_fp8 v[116:119], a[138:139], a[10:11], v[116:119]// 00000000AA48: D3F30074 1DD2158A
	v_mfma_f32_16x16x32_fp8_fp8 v[116:119], a[140:141], a[12:13], v[116:119]// 00000000AA50: D3F30074 1DD2198C
	buffer_load_dword v63, s[20:23], 0 offen lds               // 00000000AA58: E0511000 8005003F
	s_add_u32 m0, 0x200, s50                                   // 00000000AA60: 807C32FF 00000200
	v_mfma_f32_16x16x32_fp8_fp8 v[116:119], a[142:143], a[14:15], v[116:119]// 00000000AA68: D3F30074 1DD21D8E
	v_mfma_f32_16x16x32_fp8_fp8 v[88:91], a[128:129], a[16:17], v[88:91]// 00000000AA70: D3F30058 1D622180
	buffer_load_dword v64, s[20:23], 0 offen lds               // 00000000AA78: E0511000 80050040
	s_add_u32 m0, 0x300, s50                                   // 00000000AA80: 807C32FF 00000300
	v_mfma_f32_16x16x32_fp8_fp8 v[88:91], a[130:131], a[18:19], v[88:91]// 00000000AA88: D3F30058 1D622582
	v_mfma_f32_16x16x32_fp8_fp8 v[88:91], a[132:133], a[20:21], v[88:91]// 00000000AA90: D3F30058 1D622984
	buffer_load_dword v65, s[20:23], 0 offen lds               // 00000000AA98: E0511000 80050041
	s_add_u32 m0, 0x400, s50                                   // 00000000AAA0: 807C32FF 00000400
	v_mfma_f32_16x16x32_fp8_fp8 v[88:91], a[134:135], a[22:23], v[88:91]// 00000000AAA8: D3F30058 1D622D86
	v_mfma_f32_16x16x32_fp8_fp8 v[120:123], a[136:137], a[16:17], v[120:123]// 00000000AAB0: D3F30078 1DE22188
	buffer_load_dword v66, s[20:23], 0 offen lds               // 00000000AAB8: E0511000 80050042
	s_add_u32 m0, 0x500, s50                                   // 00000000AAC0: 807C32FF 00000500
	v_mfma_f32_16x16x32_fp8_fp8 v[120:123], a[138:139], a[18:19], v[120:123]// 00000000AAC8: D3F30078 1DE2258A
	v_mfma_f32_16x16x32_fp8_fp8 v[120:123], a[140:141], a[20:21], v[120:123]// 00000000AAD0: D3F30078 1DE2298C
	buffer_load_dword v67, s[20:23], 0 offen lds               // 00000000AAD8: E0511000 80050043
	s_add_u32 m0, 0x600, s50                                   // 00000000AAE0: 807C32FF 00000600
	v_mfma_f32_16x16x32_fp8_fp8 v[120:123], a[142:143], a[22:23], v[120:123]// 00000000AAE8: D3F30078 1DE22D8E
	v_mfma_f32_16x16x32_fp8_fp8 v[92:95], a[128:129], a[24:25], v[92:95]// 00000000AAF0: D3F3005C 1D723180
	buffer_load_dword v68, s[20:23], 0 offen lds               // 00000000AAF8: E0511000 80050044
	s_add_u32 m0, 0x700, s50                                   // 00000000AB00: 807C32FF 00000700
	v_mfma_f32_16x16x32_fp8_fp8 v[92:95], a[130:131], a[26:27], v[92:95]// 00000000AB08: D3F3005C 1D723582
	v_mfma_f32_16x16x32_fp8_fp8 v[92:95], a[132:133], a[28:29], v[92:95]// 00000000AB10: D3F3005C 1D723984
	buffer_load_dword v69, s[20:23], 0 offen lds               // 00000000AB18: E0511000 80050045
	s_add_u32 m0, 0x800, s50                                   // 00000000AB20: 807C32FF 00000800
	v_mfma_f32_16x16x32_fp8_fp8 v[92:95], a[134:135], a[30:31], v[92:95]// 00000000AB28: D3F3005C 1D723D86
	v_mfma_f32_16x16x32_fp8_fp8 v[124:127], a[136:137], a[24:25], v[124:127]// 00000000AB30: D3F3007C 1DF23188
	buffer_load_dword v70, s[20:23], 0 offen lds               // 00000000AB38: E0511000 80050046
	s_add_u32 m0, 0x900, s50                                   // 00000000AB40: 807C32FF 00000900
	v_mfma_f32_16x16x32_fp8_fp8 v[124:127], a[138:139], a[26:27], v[124:127]// 00000000AB48: D3F3007C 1DF2358A
	v_mfma_f32_16x16x32_fp8_fp8 v[124:127], a[140:141], a[28:29], v[124:127]// 00000000AB50: D3F3007C 1DF2398C
	buffer_load_dword v71, s[20:23], 0 offen lds               // 00000000AB58: E0511000 80050047
	s_add_u32 m0, 0xa00, s50                                   // 00000000AB60: 807C32FF 00000A00
	v_mfma_f32_16x16x32_fp8_fp8 v[124:127], a[142:143], a[30:31], v[124:127]// 00000000AB68: D3F3007C 1DF23D8E
	v_mfma_f32_16x16x32_fp8_fp8 v[96:99], a[128:129], a[32:33], v[96:99]// 00000000AB70: D3F30060 1D824180
	v_mfma_f32_16x16x32_fp8_fp8 v[96:99], a[130:131], a[34:35], v[96:99]// 00000000AB78: D3F30060 1D824582
	v_mfma_f32_16x16x32_fp8_fp8 v[96:99], a[132:133], a[36:37], v[96:99]// 00000000AB80: D3F30060 1D824984
	v_mfma_f32_16x16x32_fp8_fp8 v[96:99], a[134:135], a[38:39], v[96:99]// 00000000AB88: D3F30060 1D824D86
	v_mfma_f32_16x16x32_fp8_fp8 v[128:131], a[136:137], a[32:33], v[128:131]// 00000000AB90: D3F30080 1E024188
	v_mfma_f32_16x16x32_fp8_fp8 v[128:131], a[138:139], a[34:35], v[128:131]// 00000000AB98: D3F30080 1E02458A
	v_mfma_f32_16x16x32_fp8_fp8 v[128:131], a[140:141], a[36:37], v[128:131]// 00000000ABA0: D3F30080 1E02498C
	v_mfma_f32_16x16x32_fp8_fp8 v[128:131], a[142:143], a[38:39], v[128:131]// 00000000ABA8: D3F30080 1E024D8E
	v_mfma_f32_16x16x32_fp8_fp8 v[100:103], a[128:129], a[40:41], v[100:103]// 00000000ABB0: D3F30064 1D925180
	buffer_load_dword v72, s[20:23], 0 offen lds               // 00000000ABB8: E0511000 80050048
	s_add_u32 m0, 0xb00, s50                                   // 00000000ABC0: 807C32FF 00000B00
	v_mfma_f32_16x16x32_fp8_fp8 v[100:103], a[130:131], a[42:43], v[100:103]// 00000000ABC8: D3F30064 1D925582
	v_mfma_f32_16x16x32_fp8_fp8 v[100:103], a[132:133], a[44:45], v[100:103]// 00000000ABD0: D3F30064 1D925984
	buffer_load_dword v73, s[20:23], 0 offen lds               // 00000000ABD8: E0511000 80050049
	s_add_u32 m0, 0xc00, s50                                   // 00000000ABE0: 807C32FF 00000C00
	v_mfma_f32_16x16x32_fp8_fp8 v[100:103], a[134:135], a[46:47], v[100:103]// 00000000ABE8: D3F30064 1D925D86
	v_mfma_f32_16x16x32_fp8_fp8 v[132:135], a[136:137], a[40:41], v[132:135]// 00000000ABF0: D3F30084 1E125188
	buffer_load_dword v74, s[20:23], 0 offen lds               // 00000000ABF8: E0511000 8005004A
	s_add_u32 m0, 0xd00, s50                                   // 00000000AC00: 807C32FF 00000D00
	v_mfma_f32_16x16x32_fp8_fp8 v[132:135], a[138:139], a[42:43], v[132:135]// 00000000AC08: D3F30084 1E12558A
	v_mfma_f32_16x16x32_fp8_fp8 v[132:135], a[140:141], a[44:45], v[132:135]// 00000000AC10: D3F30084 1E12598C
	buffer_load_dword v75, s[20:23], 0 offen lds               // 00000000AC18: E0511000 8005004B
	s_add_u32 m0, 0xe00, s50                                   // 00000000AC20: 807C32FF 00000E00
	v_mfma_f32_16x16x32_fp8_fp8 v[132:135], a[142:143], a[46:47], v[132:135]// 00000000AC28: D3F30084 1E125D8E
	v_mfma_f32_16x16x32_fp8_fp8 v[104:107], a[128:129], a[48:49], v[104:107]// 00000000AC30: D3F30068 1DA26180
	v_mfma_f32_16x16x32_fp8_fp8 v[104:107], a[130:131], a[50:51], v[104:107]// 00000000AC38: D3F30068 1DA26582
	v_mfma_f32_16x16x32_fp8_fp8 v[104:107], a[132:133], a[52:53], v[104:107]// 00000000AC40: D3F30068 1DA26984
	v_mfma_f32_16x16x32_fp8_fp8 v[104:107], a[134:135], a[54:55], v[104:107]// 00000000AC48: D3F30068 1DA26D86
	v_mfma_f32_16x16x32_fp8_fp8 v[136:139], a[136:137], a[48:49], v[136:139]// 00000000AC50: D3F30088 1E226188
	v_mfma_f32_16x16x32_fp8_fp8 v[136:139], a[138:139], a[50:51], v[136:139]// 00000000AC58: D3F30088 1E22658A
	v_mfma_f32_16x16x32_fp8_fp8 v[136:139], a[140:141], a[52:53], v[136:139]// 00000000AC60: D3F30088 1E22698C
	v_mfma_f32_16x16x32_fp8_fp8 v[136:139], a[142:143], a[54:55], v[136:139]// 00000000AC68: D3F30088 1E226D8E
	v_mfma_f32_16x16x32_fp8_fp8 v[108:111], a[128:129], a[56:57], v[108:111]// 00000000AC70: D3F3006C 1DB27180
	buffer_load_dword v76, s[20:23], 0 offen lds               // 00000000AC78: E0511000 8005004C
	s_add_u32 m0, 0xf00, s50                                   // 00000000AC80: 807C32FF 00000F00
	v_mfma_f32_16x16x32_fp8_fp8 v[108:111], a[130:131], a[58:59], v[108:111]// 00000000AC88: D3F3006C 1DB27582
	v_mfma_f32_16x16x32_fp8_fp8 v[108:111], a[132:133], a[60:61], v[108:111]// 00000000AC90: D3F3006C 1DB27984
	buffer_load_dword v77, s[20:23], 0 offen lds               // 00000000AC98: E0511000 8005004D
	s_add_u32 m0, 0, s48                                       // 00000000ACA0: 807C3080
	v_mfma_f32_16x16x32_fp8_fp8 v[108:111], a[134:135], a[62:63], v[108:111]// 00000000ACA4: D3F3006C 1DB27D86
	v_mfma_f32_16x16x32_fp8_fp8 v[140:143], a[136:137], a[56:57], v[140:143]// 00000000ACAC: D3F3008C 1E327188
	v_mfma_f32_16x16x32_fp8_fp8 v[140:143], a[138:139], a[58:59], v[140:143]// 00000000ACB4: D3F3008C 1E32758A
	v_mfma_f32_16x16x32_fp8_fp8 v[140:143], a[140:141], a[60:61], v[140:143]// 00000000ACBC: D3F3008C 1E32798C
	v_mfma_f32_16x16x32_fp8_fp8 v[140:143], a[142:143], a[62:63], v[140:143]// 00000000ACC4: D3F3008C 1E327D8E
	s_waitcnt vmcnt(20)                                        // 00000000ACCC: BF8C4F74
	s_barrier                                                  // 00000000ACD0: BF8A0000
	v_mfma_f32_16x16x32_fp8_fp8 v[144:147], a[144:145], a[0:1], v[144:147]// 00000000ACD4: D3F30090 1E420190
	buffer_load_dwordx4 a[128:131], v78, s[84:87], 0 offen     // 00000000ACDC: E05C1000 8095804E
	v_mfma_f32_16x16x32_fp8_fp8 v[144:147], a[146:147], a[2:3], v[144:147]// 00000000ACE4: D3F30090 1E420592
	v_mfma_f32_16x16x32_fp8_fp8 v[144:147], a[148:149], a[4:5], v[144:147]// 00000000ACEC: D3F30090 1E420994
	ds_read_b128 a[64:67], v2 offset:16512                     // 00000000ACF4: DBFE4080 40000002
	ds_read_b128 a[68:71], v2 offset:16576                     // 00000000ACFC: DBFE40C0 44000002
	v_mfma_f32_16x16x32_fp8_fp8 v[144:147], a[150:151], a[6:7], v[144:147]// 00000000AD04: D3F30090 1E420D96
	v_mfma_f32_16x16x32_fp8_fp8 v[176:179], a[152:153], a[0:1], v[176:179]// 00000000AD0C: D3F300B0 1EC20198
	buffer_load_dwordx4 a[132:135], v78, s[84:87], 0 offen offset:1024// 00000000AD14: E05C1400 8095844E
	v_mfma_f32_16x16x32_fp8_fp8 v[176:179], a[154:155], a[2:3], v[176:179]// 00000000AD1C: D3F300B0 1EC2059A
	v_mfma_f32_16x16x32_fp8_fp8 v[176:179], a[156:157], a[4:5], v[176:179]// 00000000AD24: D3F300B0 1EC2099C
	ds_read_b128 a[72:75], v2 offset:17024                     // 00000000AD2C: DBFE4280 48000002
	ds_read_b128 a[76:79], v2 offset:17088                     // 00000000AD34: DBFE42C0 4C000002
	v_mfma_f32_16x16x32_fp8_fp8 v[176:179], a[158:159], a[6:7], v[176:179]// 00000000AD3C: D3F300B0 1EC20D9E
	v_mfma_f32_16x16x32_fp8_fp8 v[148:151], a[144:145], a[8:9], v[148:151]// 00000000AD44: D3F30094 1E521190
	buffer_load_dwordx4 a[136:139], v79, s[84:87], 0 offen     // 00000000AD4C: E05C1000 8095884F
	v_mfma_f32_16x16x32_fp8_fp8 v[148:151], a[146:147], a[10:11], v[148:151]// 00000000AD54: D3F30094 1E521592
	v_mfma_f32_16x16x32_fp8_fp8 v[148:151], a[148:149], a[12:13], v[148:151]// 00000000AD5C: D3F30094 1E521994
	ds_read_b128 a[80:83], v2 offset:17536                     // 00000000AD64: DBFE4480 50000002
	ds_read_b128 a[84:87], v2 offset:17600                     // 00000000AD6C: DBFE44C0 54000002
	v_mfma_f32_16x16x32_fp8_fp8 v[148:151], a[150:151], a[14:15], v[148:151]// 00000000AD74: D3F30094 1E521D96
	v_mfma_f32_16x16x32_fp8_fp8 v[180:183], a[152:153], a[8:9], v[180:183]// 00000000AD7C: D3F300B4 1ED21198
	buffer_load_dwordx4 a[140:143], v79, s[84:87], 0 offen offset:1024// 00000000AD84: E05C1400 80958C4F
	v_mfma_f32_16x16x32_fp8_fp8 v[180:183], a[154:155], a[10:11], v[180:183]// 00000000AD8C: D3F300B4 1ED2159A
	v_mfma_f32_16x16x32_fp8_fp8 v[180:183], a[156:157], a[12:13], v[180:183]// 00000000AD94: D3F300B4 1ED2199C
	ds_read_b128 a[88:91], v2 offset:18048                     // 00000000AD9C: DBFE4680 58000002
	ds_read_b128 a[92:95], v2 offset:18112                     // 00000000ADA4: DBFE46C0 5C000002
	v_mfma_f32_16x16x32_fp8_fp8 v[180:183], a[158:159], a[14:15], v[180:183]// 00000000ADAC: D3F300B4 1ED21D9E
	v_mfma_f32_16x16x32_fp8_fp8 v[152:155], a[144:145], a[16:17], v[152:155]// 00000000ADB4: D3F30098 1E622190
	v_mfma_f32_16x16x32_fp8_fp8 v[152:155], a[146:147], a[18:19], v[152:155]// 00000000ADBC: D3F30098 1E622592
	v_mfma_f32_16x16x32_fp8_fp8 v[152:155], a[148:149], a[20:21], v[152:155]// 00000000ADC4: D3F30098 1E622994
	ds_read_b128 a[96:99], v2 offset:18560                     // 00000000ADCC: DBFE4880 60000002
	ds_read_b128 a[100:103], v2 offset:18624                   // 00000000ADD4: DBFE48C0 64000002
	v_mfma_f32_16x16x32_fp8_fp8 v[152:155], a[150:151], a[22:23], v[152:155]// 00000000ADDC: D3F30098 1E622D96
	v_mfma_f32_16x16x32_fp8_fp8 v[184:187], a[152:153], a[16:17], v[184:187]// 00000000ADE4: D3F300B8 1EE22198
	v_mfma_f32_16x16x32_fp8_fp8 v[184:187], a[154:155], a[18:19], v[184:187]// 00000000ADEC: D3F300B8 1EE2259A
	v_mfma_f32_16x16x32_fp8_fp8 v[184:187], a[156:157], a[20:21], v[184:187]// 00000000ADF4: D3F300B8 1EE2299C
	ds_read_b128 a[104:107], v2 offset:19072                   // 00000000ADFC: DBFE4A80 68000002
	ds_read_b128 a[108:111], v2 offset:19136                   // 00000000AE04: DBFE4AC0 6C000002
	v_mfma_f32_16x16x32_fp8_fp8 v[184:187], a[158:159], a[22:23], v[184:187]// 00000000AE0C: D3F300B8 1EE22D9E
	v_mfma_f32_16x16x32_fp8_fp8 v[156:159], a[144:145], a[24:25], v[156:159]// 00000000AE14: D3F3009C 1E723190
	v_mfma_f32_16x16x32_fp8_fp8 v[156:159], a[146:147], a[26:27], v[156:159]// 00000000AE1C: D3F3009C 1E723592
	v_mfma_f32_16x16x32_fp8_fp8 v[156:159], a[148:149], a[28:29], v[156:159]// 00000000AE24: D3F3009C 1E723994
	ds_read_b128 a[112:115], v2 offset:19584                   // 00000000AE2C: DBFE4C80 70000002
	ds_read_b128 a[116:119], v2 offset:19648                   // 00000000AE34: DBFE4CC0 74000002
	v_mfma_f32_16x16x32_fp8_fp8 v[156:159], a[150:151], a[30:31], v[156:159]// 00000000AE3C: D3F3009C 1E723D96
	v_mfma_f32_16x16x32_fp8_fp8 v[188:191], a[152:153], a[24:25], v[188:191]// 00000000AE44: D3F300BC 1EF23198
	v_mfma_f32_16x16x32_fp8_fp8 v[188:191], a[154:155], a[26:27], v[188:191]// 00000000AE4C: D3F300BC 1EF2359A
	v_mfma_f32_16x16x32_fp8_fp8 v[188:191], a[156:157], a[28:29], v[188:191]// 00000000AE54: D3F300BC 1EF2399C
	ds_read_b128 a[120:123], v2 offset:20096                   // 00000000AE5C: DBFE4E80 78000002
	ds_read_b128 a[124:127], v2 offset:20160                   // 00000000AE64: DBFE4EC0 7C000002
	v_mfma_f32_16x16x32_fp8_fp8 v[188:191], a[158:159], a[30:31], v[188:191]// 00000000AE6C: D3F300BC 1EF23D9E
	v_mfma_f32_16x16x32_fp8_fp8 v[160:163], a[144:145], a[32:33], v[160:163]// 00000000AE74: D3F300A0 1E824190
	v_mfma_f32_16x16x32_fp8_fp8 v[160:163], a[146:147], a[34:35], v[160:163]// 00000000AE7C: D3F300A0 1E824592
	v_mfma_f32_16x16x32_fp8_fp8 v[160:163], a[148:149], a[36:37], v[160:163]// 00000000AE84: D3F300A0 1E824994
	v_mfma_f32_16x16x32_fp8_fp8 v[160:163], a[150:151], a[38:39], v[160:163]// 00000000AE8C: D3F300A0 1E824D96
	v_mfma_f32_16x16x32_fp8_fp8 v[192:195], a[152:153], a[32:33], v[192:195]// 00000000AE94: D3F300C0 1F024198
	v_mfma_f32_16x16x32_fp8_fp8 v[192:195], a[154:155], a[34:35], v[192:195]// 00000000AE9C: D3F300C0 1F02459A
	v_mfma_f32_16x16x32_fp8_fp8 v[192:195], a[156:157], a[36:37], v[192:195]// 00000000AEA4: D3F300C0 1F02499C
	v_mfma_f32_16x16x32_fp8_fp8 v[192:195], a[158:159], a[38:39], v[192:195]// 00000000AEAC: D3F300C0 1F024D9E
	v_mfma_f32_16x16x32_fp8_fp8 v[164:167], a[144:145], a[40:41], v[164:167]// 00000000AEB4: D3F300A4 1E925190
	v_mfma_f32_16x16x32_fp8_fp8 v[164:167], a[146:147], a[42:43], v[164:167]// 00000000AEBC: D3F300A4 1E925592
	v_mfma_f32_16x16x32_fp8_fp8 v[164:167], a[148:149], a[44:45], v[164:167]// 00000000AEC4: D3F300A4 1E925994
	v_mfma_f32_16x16x32_fp8_fp8 v[164:167], a[150:151], a[46:47], v[164:167]// 00000000AECC: D3F300A4 1E925D96
	v_mfma_f32_16x16x32_fp8_fp8 v[196:199], a[152:153], a[40:41], v[196:199]// 00000000AED4: D3F300C4 1F125198
	v_mfma_f32_16x16x32_fp8_fp8 v[196:199], a[154:155], a[42:43], v[196:199]// 00000000AEDC: D3F300C4 1F12559A
	v_mfma_f32_16x16x32_fp8_fp8 v[196:199], a[156:157], a[44:45], v[196:199]// 00000000AEE4: D3F300C4 1F12599C
	v_mfma_f32_16x16x32_fp8_fp8 v[196:199], a[158:159], a[46:47], v[196:199]// 00000000AEEC: D3F300C4 1F125D9E
	v_mfma_f32_16x16x32_fp8_fp8 v[168:171], a[144:145], a[48:49], v[168:171]// 00000000AEF4: D3F300A8 1EA26190
	v_mfma_f32_16x16x32_fp8_fp8 v[168:171], a[146:147], a[50:51], v[168:171]// 00000000AEFC: D3F300A8 1EA26592
	v_mfma_f32_16x16x32_fp8_fp8 v[168:171], a[148:149], a[52:53], v[168:171]// 00000000AF04: D3F300A8 1EA26994
	v_mfma_f32_16x16x32_fp8_fp8 v[168:171], a[150:151], a[54:55], v[168:171]// 00000000AF0C: D3F300A8 1EA26D96
	v_mfma_f32_16x16x32_fp8_fp8 v[200:203], a[152:153], a[48:49], v[200:203]// 00000000AF14: D3F300C8 1F226198
	v_mfma_f32_16x16x32_fp8_fp8 v[200:203], a[154:155], a[50:51], v[200:203]// 00000000AF1C: D3F300C8 1F22659A
	v_mfma_f32_16x16x32_fp8_fp8 v[200:203], a[156:157], a[52:53], v[200:203]// 00000000AF24: D3F300C8 1F22699C
	v_mfma_f32_16x16x32_fp8_fp8 v[200:203], a[158:159], a[54:55], v[200:203]// 00000000AF2C: D3F300C8 1F226D9E
	v_mfma_f32_16x16x32_fp8_fp8 v[172:175], a[144:145], a[56:57], v[172:175]// 00000000AF34: D3F300AC 1EB27190
	s_add_u32 s60, 0x180, s80                                  // 00000000AF3C: 803C50FF 00000180
	s_cmp_lt_u32 s60, s81                                      // 00000000AF44: BF0A513C
	s_cselect_b32 s57, s57, 0                                  // 00000000AF48: 85398039
	v_mfma_f32_16x16x32_fp8_fp8 v[172:175], a[146:147], a[58:59], v[172:175]// 00000000AF4C: D3F300AC 1EB27592
	s_add_u32 s60, 0x100, s80                                  // 00000000AF54: 803C50FF 00000100
	s_cmp_lt_u32 s60, s81                                      // 00000000AF5C: BF0A513C
	s_cselect_b32 s58, s58, 0                                  // 00000000AF60: 853A803A
	v_mfma_f32_16x16x32_fp8_fp8 v[172:175], a[148:149], a[60:61], v[172:175]// 00000000AF64: D3F300AC 1EB27994
	s_add_u32 s60, 0x100, s80                                  // 00000000AF6C: 803C50FF 00000100
	s_cmp_lt_u32 s60, s81                                      // 00000000AF74: BF0A513C
	s_cselect_b32 s83, s83, 0                                  // 00000000AF78: 85538053
	v_mfma_f32_16x16x32_fp8_fp8 v[172:175], a[150:151], a[62:63], v[172:175]// 00000000AF7C: D3F300AC 1EB27D96
	s_add_u32 s24, s58, s24                                    // 00000000AF84: 8018183A
	s_addc_u32 s25, 0, s25                                     // 00000000AF88: 82191980
	v_mfma_f32_16x16x32_fp8_fp8 v[204:207], a[152:153], a[56:57], v[204:207]// 00000000AF8C: D3F300CC 1F327198
	s_add_u32 s20, s57, s20                                    // 00000000AF94: 80141439
	s_addc_u32 s21, 0, s21                                     // 00000000AF98: 82151580
	v_mfma_f32_16x16x32_fp8_fp8 v[204:207], a[154:155], a[58:59], v[204:207]// 00000000AF9C: D3F300CC 1F32759A
	s_add_u32 s84, s83, s84                                    // 00000000AFA4: 80545453
	s_addc_u32 s85, 0, s85                                     // 00000000AFA8: 82555580
	v_mfma_f32_16x16x32_fp8_fp8 v[204:207], a[156:157], a[60:61], v[204:207]// 00000000AFAC: D3F300CC 1F32799C
	v_mfma_f32_16x16x32_fp8_fp8 v[204:207], a[158:159], a[62:63], v[204:207]// 00000000AFB4: D3F300CC 1F327D9E
	s_addk_i32 s80, 0x80                                       // 00000000AFBC: B7500080
	s_cmp_lt_i32 s80, s81                                      // 00000000AFC0: BF045150
	s_cbranch_scc0 label_2919                                  // 00000000AFC4: BF8407A4
	s_waitcnt vmcnt(20) lgkmcnt(0)                             // 00000000AFC8: BF8C4074
	v_mfma_f32_16x16x32_fp8_fp8 v[80:83], a[160:161], a[64:65], v[80:83]// 00000000AFCC: D3F30050 1D4281A0
	buffer_load_dwordx4 a[144:147], v78, s[24:27], 0 offen     // 00000000AFD4: E05C1000 8086904E
	v_mfma_f32_16x16x32_fp8_fp8 v[80:83], a[162:163], a[66:67], v[80:83]// 00000000AFDC: D3F30050 1D4285A2
	v_mfma_f32_16x16x32_fp8_fp8 v[80:83], a[164:165], a[68:69], v[80:83]// 00000000AFE4: D3F30050 1D4289A4
	v_mfma_f32_16x16x32_fp8_fp8 v[80:83], a[166:167], a[70:71], v[80:83]// 00000000AFEC: D3F30050 1D428DA6
	v_mfma_f32_16x16x32_fp8_fp8 v[112:115], a[168:169], a[64:65], v[112:115]// 00000000AFF4: D3F30070 1DC281A8
	buffer_load_dwordx4 a[148:151], v78, s[24:27], 0 offen offset:1024// 00000000AFFC: E05C1400 8086944E
	v_mfma_f32_16x16x32_fp8_fp8 v[112:115], a[170:171], a[66:67], v[112:115]// 00000000B004: D3F30070 1DC285AA
	v_mfma_f32_16x16x32_fp8_fp8 v[112:115], a[172:173], a[68:69], v[112:115]// 00000000B00C: D3F30070 1DC289AC
	v_mfma_f32_16x16x32_fp8_fp8 v[112:115], a[174:175], a[70:71], v[112:115]// 00000000B014: D3F30070 1DC28DAE
	v_mfma_f32_16x16x32_fp8_fp8 v[84:87], a[160:161], a[72:73], v[84:87]// 00000000B01C: D3F30054 1D5291A0
	buffer_load_dwordx4 a[152:155], v79, s[24:27], 0 offen     // 00000000B024: E05C1000 8086984F
	v_mfma_f32_16x16x32_fp8_fp8 v[84:87], a[162:163], a[74:75], v[84:87]// 00000000B02C: D3F30054 1D5295A2
	v_mfma_f32_16x16x32_fp8_fp8 v[84:87], a[164:165], a[76:77], v[84:87]// 00000000B034: D3F30054 1D5299A4
	v_mfma_f32_16x16x32_fp8_fp8 v[84:87], a[166:167], a[78:79], v[84:87]// 00000000B03C: D3F30054 1D529DA6
	v_mfma_f32_16x16x32_fp8_fp8 v[116:119], a[168:169], a[72:73], v[116:119]// 00000000B044: D3F30074 1DD291A8
	buffer_load_dwordx4 a[156:159], v79, s[24:27], 0 offen offset:1024// 00000000B04C: E05C1400 80869C4F
	buffer_load_dword v62, s[20:23], 0 offen lds               // 00000000B054: E0511000 8005003E
	s_add_u32 m0, 0x100, s48                                   // 00000000B05C: 807C30FF 00000100
	v_mfma_f32_16x16x32_fp8_fp8 v[116:119], a[170:171], a[74:75], v[116:119]// 00000000B064: D3F30074 1DD295AA
	v_mfma_f32_16x16x32_fp8_fp8 v[116:119], a[172:173], a[76:77], v[116:119]// 00000000B06C: D3F30074 1DD299AC
	buffer_load_dword v63, s[20:23], 0 offen lds               // 00000000B074: E0511000 8005003F
	s_add_u32 m0, 0x200, s48                                   // 00000000B07C: 807C30FF 00000200
	v_mfma_f32_16x16x32_fp8_fp8 v[116:119], a[174:175], a[78:79], v[116:119]// 00000000B084: D3F30074 1DD29DAE
	v_mfma_f32_16x16x32_fp8_fp8 v[88:91], a[160:161], a[80:81], v[88:91]// 00000000B08C: D3F30058 1D62A1A0
	buffer_load_dword v64, s[20:23], 0 offen lds               // 00000000B094: E0511000 80050040
	s_add_u32 m0, 0x300, s48                                   // 00000000B09C: 807C30FF 00000300
	v_mfma_f32_16x16x32_fp8_fp8 v[88:91], a[162:163], a[82:83], v[88:91]// 00000000B0A4: D3F30058 1D62A5A2
	v_mfma_f32_16x16x32_fp8_fp8 v[88:91], a[164:165], a[84:85], v[88:91]// 00000000B0AC: D3F30058 1D62A9A4
	buffer_load_dword v65, s[20:23], 0 offen lds               // 00000000B0B4: E0511000 80050041
	s_add_u32 m0, 0x400, s48                                   // 00000000B0BC: 807C30FF 00000400
	v_mfma_f32_16x16x32_fp8_fp8 v[88:91], a[166:167], a[86:87], v[88:91]// 00000000B0C4: D3F30058 1D62ADA6
	v_mfma_f32_16x16x32_fp8_fp8 v[120:123], a[168:169], a[80:81], v[120:123]// 00000000B0CC: D3F30078 1DE2A1A8
	buffer_load_dword v66, s[20:23], 0 offen lds               // 00000000B0D4: E0511000 80050042
	s_add_u32 m0, 0x500, s48                                   // 00000000B0DC: 807C30FF 00000500
	v_mfma_f32_16x16x32_fp8_fp8 v[120:123], a[170:171], a[82:83], v[120:123]// 00000000B0E4: D3F30078 1DE2A5AA
	v_mfma_f32_16x16x32_fp8_fp8 v[120:123], a[172:173], a[84:85], v[120:123]// 00000000B0EC: D3F30078 1DE2A9AC
	buffer_load_dword v67, s[20:23], 0 offen lds               // 00000000B0F4: E0511000 80050043
	s_add_u32 m0, 0x600, s48                                   // 00000000B0FC: 807C30FF 00000600
	v_mfma_f32_16x16x32_fp8_fp8 v[120:123], a[174:175], a[86:87], v[120:123]// 00000000B104: D3F30078 1DE2ADAE
	v_mfma_f32_16x16x32_fp8_fp8 v[92:95], a[160:161], a[88:89], v[92:95]// 00000000B10C: D3F3005C 1D72B1A0
	buffer_load_dword v68, s[20:23], 0 offen lds               // 00000000B114: E0511000 80050044
	s_add_u32 m0, 0x700, s48                                   // 00000000B11C: 807C30FF 00000700
	v_mfma_f32_16x16x32_fp8_fp8 v[92:95], a[162:163], a[90:91], v[92:95]// 00000000B124: D3F3005C 1D72B5A2
	v_mfma_f32_16x16x32_fp8_fp8 v[92:95], a[164:165], a[92:93], v[92:95]// 00000000B12C: D3F3005C 1D72B9A4
	buffer_load_dword v69, s[20:23], 0 offen lds               // 00000000B134: E0511000 80050045
	s_add_u32 m0, 0x800, s48                                   // 00000000B13C: 807C30FF 00000800
	v_mfma_f32_16x16x32_fp8_fp8 v[92:95], a[166:167], a[94:95], v[92:95]// 00000000B144: D3F3005C 1D72BDA6
	v_mfma_f32_16x16x32_fp8_fp8 v[124:127], a[168:169], a[88:89], v[124:127]// 00000000B14C: D3F3007C 1DF2B1A8
	buffer_load_dword v70, s[20:23], 0 offen lds               // 00000000B154: E0511000 80050046
	s_add_u32 m0, 0x900, s48                                   // 00000000B15C: 807C30FF 00000900
	v_mfma_f32_16x16x32_fp8_fp8 v[124:127], a[170:171], a[90:91], v[124:127]// 00000000B164: D3F3007C 1DF2B5AA
	v_mfma_f32_16x16x32_fp8_fp8 v[124:127], a[172:173], a[92:93], v[124:127]// 00000000B16C: D3F3007C 1DF2B9AC
	buffer_load_dword v71, s[20:23], 0 offen lds               // 00000000B174: E0511000 80050047
	s_add_u32 m0, 0xa00, s48                                   // 00000000B17C: 807C30FF 00000A00
	v_mfma_f32_16x16x32_fp8_fp8 v[124:127], a[174:175], a[94:95], v[124:127]// 00000000B184: D3F3007C 1DF2BDAE
	v_mfma_f32_16x16x32_fp8_fp8 v[96:99], a[160:161], a[96:97], v[96:99]// 00000000B18C: D3F30060 1D82C1A0
	v_mfma_f32_16x16x32_fp8_fp8 v[96:99], a[162:163], a[98:99], v[96:99]// 00000000B194: D3F30060 1D82C5A2
	v_mfma_f32_16x16x32_fp8_fp8 v[96:99], a[164:165], a[100:101], v[96:99]// 00000000B19C: D3F30060 1D82C9A4
	v_mfma_f32_16x16x32_fp8_fp8 v[96:99], a[166:167], a[102:103], v[96:99]// 00000000B1A4: D3F30060 1D82CDA6
	v_mfma_f32_16x16x32_fp8_fp8 v[128:131], a[168:169], a[96:97], v[128:131]// 00000000B1AC: D3F30080 1E02C1A8
	v_mfma_f32_16x16x32_fp8_fp8 v[128:131], a[170:171], a[98:99], v[128:131]// 00000000B1B4: D3F30080 1E02C5AA
	v_mfma_f32_16x16x32_fp8_fp8 v[128:131], a[172:173], a[100:101], v[128:131]// 00000000B1BC: D3F30080 1E02C9AC
	v_mfma_f32_16x16x32_fp8_fp8 v[128:131], a[174:175], a[102:103], v[128:131]// 00000000B1C4: D3F30080 1E02CDAE
	v_mfma_f32_16x16x32_fp8_fp8 v[100:103], a[160:161], a[104:105], v[100:103]// 00000000B1CC: D3F30064 1D92D1A0
	buffer_load_dword v72, s[20:23], 0 offen lds               // 00000000B1D4: E0511000 80050048
	s_add_u32 m0, 0xb00, s48                                   // 00000000B1DC: 807C30FF 00000B00
	v_mfma_f32_16x16x32_fp8_fp8 v[100:103], a[162:163], a[106:107], v[100:103]// 00000000B1E4: D3F30064 1D92D5A2
	v_mfma_f32_16x16x32_fp8_fp8 v[100:103], a[164:165], a[108:109], v[100:103]// 00000000B1EC: D3F30064 1D92D9A4
	buffer_load_dword v73, s[20:23], 0 offen lds               // 00000000B1F4: E0511000 80050049
	s_add_u32 m0, 0xc00, s48                                   // 00000000B1FC: 807C30FF 00000C00
	v_mfma_f32_16x16x32_fp8_fp8 v[100:103], a[166:167], a[110:111], v[100:103]// 00000000B204: D3F30064 1D92DDA6
	v_mfma_f32_16x16x32_fp8_fp8 v[132:135], a[168:169], a[104:105], v[132:135]// 00000000B20C: D3F30084 1E12D1A8
	buffer_load_dword v74, s[20:23], 0 offen lds               // 00000000B214: E0511000 8005004A
	s_add_u32 m0, 0xd00, s48                                   // 00000000B21C: 807C30FF 00000D00
	v_mfma_f32_16x16x32_fp8_fp8 v[132:135], a[170:171], a[106:107], v[132:135]// 00000000B224: D3F30084 1E12D5AA
	v_mfma_f32_16x16x32_fp8_fp8 v[132:135], a[172:173], a[108:109], v[132:135]// 00000000B22C: D3F30084 1E12D9AC
	buffer_load_dword v75, s[20:23], 0 offen lds               // 00000000B234: E0511000 8005004B
	s_add_u32 m0, 0xe00, s48                                   // 00000000B23C: 807C30FF 00000E00
	v_mfma_f32_16x16x32_fp8_fp8 v[132:135], a[174:175], a[110:111], v[132:135]// 00000000B244: D3F30084 1E12DDAE
	v_mfma_f32_16x16x32_fp8_fp8 v[104:107], a[160:161], a[112:113], v[104:107]// 00000000B24C: D3F30068 1DA2E1A0
	v_mfma_f32_16x16x32_fp8_fp8 v[104:107], a[162:163], a[114:115], v[104:107]// 00000000B254: D3F30068 1DA2E5A2
	v_mfma_f32_16x16x32_fp8_fp8 v[104:107], a[164:165], a[116:117], v[104:107]// 00000000B25C: D3F30068 1DA2E9A4
	v_mfma_f32_16x16x32_fp8_fp8 v[104:107], a[166:167], a[118:119], v[104:107]// 00000000B264: D3F30068 1DA2EDA6
	v_mfma_f32_16x16x32_fp8_fp8 v[136:139], a[168:169], a[112:113], v[136:139]// 00000000B26C: D3F30088 1E22E1A8
	v_mfma_f32_16x16x32_fp8_fp8 v[136:139], a[170:171], a[114:115], v[136:139]// 00000000B274: D3F30088 1E22E5AA
	v_mfma_f32_16x16x32_fp8_fp8 v[136:139], a[172:173], a[116:117], v[136:139]// 00000000B27C: D3F30088 1E22E9AC
	v_mfma_f32_16x16x32_fp8_fp8 v[136:139], a[174:175], a[118:119], v[136:139]// 00000000B284: D3F30088 1E22EDAE
	v_mfma_f32_16x16x32_fp8_fp8 v[108:111], a[160:161], a[120:121], v[108:111]// 00000000B28C: D3F3006C 1DB2F1A0
	buffer_load_dword v76, s[20:23], 0 offen lds               // 00000000B294: E0511000 8005004C
	s_add_u32 m0, 0xf00, s48                                   // 00000000B29C: 807C30FF 00000F00
	v_mfma_f32_16x16x32_fp8_fp8 v[108:111], a[162:163], a[122:123], v[108:111]// 00000000B2A4: D3F3006C 1DB2F5A2
	v_mfma_f32_16x16x32_fp8_fp8 v[108:111], a[164:165], a[124:125], v[108:111]// 00000000B2AC: D3F3006C 1DB2F9A4
	buffer_load_dword v77, s[20:23], 0 offen lds               // 00000000B2B4: E0511000 8005004D
	s_add_u32 m0, 0, s49                                       // 00000000B2BC: 807C3180
	v_mfma_f32_16x16x32_fp8_fp8 v[108:111], a[166:167], a[126:127], v[108:111]// 00000000B2C0: D3F3006C 1DB2FDA6
	v_mfma_f32_16x16x32_fp8_fp8 v[140:143], a[168:169], a[120:121], v[140:143]// 00000000B2C8: D3F3008C 1E32F1A8
	v_mfma_f32_16x16x32_fp8_fp8 v[140:143], a[170:171], a[122:123], v[140:143]// 00000000B2D0: D3F3008C 1E32F5AA
	v_mfma_f32_16x16x32_fp8_fp8 v[140:143], a[172:173], a[124:125], v[140:143]// 00000000B2D8: D3F3008C 1E32F9AC
	v_mfma_f32_16x16x32_fp8_fp8 v[140:143], a[174:175], a[126:127], v[140:143]// 00000000B2E0: D3F3008C 1E32FDAE
	s_waitcnt vmcnt(20)                                        // 00000000B2E8: BF8C4F74
	s_barrier                                                  // 00000000B2EC: BF8A0000
	v_mfma_f32_16x16x32_fp8_fp8 v[144:147], a[128:129], a[64:65], v[144:147]// 00000000B2F0: D3F30090 1E428180
	buffer_load_dwordx4 a[160:163], v78, s[84:87], 0 offen     // 00000000B2F8: E05C1000 8095A04E
	v_mfma_f32_16x16x32_fp8_fp8 v[144:147], a[130:131], a[66:67], v[144:147]// 00000000B300: D3F30090 1E428582
	v_mfma_f32_16x16x32_fp8_fp8 v[144:147], a[132:133], a[68:69], v[144:147]// 00000000B308: D3F30090 1E428984
	ds_read_b128 a[0:3], v2 offset:33024                       // 00000000B310: DBFE8100 00000002
	ds_read_b128 a[4:7], v2 offset:33088                       // 00000000B318: DBFE8140 04000002
	v_mfma_f32_16x16x32_fp8_fp8 v[144:147], a[134:135], a[70:71], v[144:147]// 00000000B320: D3F30090 1E428D86
	v_mfma_f32_16x16x32_fp8_fp8 v[176:179], a[136:137], a[64:65], v[176:179]// 00000000B328: D3F300B0 1EC28188
	buffer_load_dwordx4 a[164:167], v78, s[84:87], 0 offen offset:1024// 00000000B330: E05C1400 8095A44E
	v_mfma_f32_16x16x32_fp8_fp8 v[176:179], a[138:139], a[66:67], v[176:179]// 00000000B338: D3F300B0 1EC2858A
	v_mfma_f32_16x16x32_fp8_fp8 v[176:179], a[140:141], a[68:69], v[176:179]// 00000000B340: D3F300B0 1EC2898C
	ds_read_b128 a[8:11], v2 offset:33536                      // 00000000B348: DBFE8300 08000002
	ds_read_b128 a[12:15], v2 offset:33600                     // 00000000B350: DBFE8340 0C000002
	v_mfma_f32_16x16x32_fp8_fp8 v[176:179], a[142:143], a[70:71], v[176:179]// 00000000B358: D3F300B0 1EC28D8E
	v_mfma_f32_16x16x32_fp8_fp8 v[148:151], a[128:129], a[72:73], v[148:151]// 00000000B360: D3F30094 1E529180
	buffer_load_dwordx4 a[168:171], v79, s[84:87], 0 offen     // 00000000B368: E05C1000 8095A84F
	v_mfma_f32_16x16x32_fp8_fp8 v[148:151], a[130:131], a[74:75], v[148:151]// 00000000B370: D3F30094 1E529582
	v_mfma_f32_16x16x32_fp8_fp8 v[148:151], a[132:133], a[76:77], v[148:151]// 00000000B378: D3F30094 1E529984
	ds_read_b128 a[16:19], v2 offset:34048                     // 00000000B380: DBFE8500 10000002
	ds_read_b128 a[20:23], v2 offset:34112                     // 00000000B388: DBFE8540 14000002
	v_mfma_f32_16x16x32_fp8_fp8 v[148:151], a[134:135], a[78:79], v[148:151]// 00000000B390: D3F30094 1E529D86
	v_mfma_f32_16x16x32_fp8_fp8 v[180:183], a[136:137], a[72:73], v[180:183]// 00000000B398: D3F300B4 1ED29188
	buffer_load_dwordx4 a[172:175], v79, s[84:87], 0 offen offset:1024// 00000000B3A0: E05C1400 8095AC4F
	v_mfma_f32_16x16x32_fp8_fp8 v[180:183], a[138:139], a[74:75], v[180:183]// 00000000B3A8: D3F300B4 1ED2958A
	v_mfma_f32_16x16x32_fp8_fp8 v[180:183], a[140:141], a[76:77], v[180:183]// 00000000B3B0: D3F300B4 1ED2998C
	ds_read_b128 a[24:27], v2 offset:34560                     // 00000000B3B8: DBFE8700 18000002
	ds_read_b128 a[28:31], v2 offset:34624                     // 00000000B3C0: DBFE8740 1C000002
	v_mfma_f32_16x16x32_fp8_fp8 v[180:183], a[142:143], a[78:79], v[180:183]// 00000000B3C8: D3F300B4 1ED29D8E
	v_mfma_f32_16x16x32_fp8_fp8 v[152:155], a[128:129], a[80:81], v[152:155]// 00000000B3D0: D3F30098 1E62A180
	v_mfma_f32_16x16x32_fp8_fp8 v[152:155], a[130:131], a[82:83], v[152:155]// 00000000B3D8: D3F30098 1E62A582
	v_mfma_f32_16x16x32_fp8_fp8 v[152:155], a[132:133], a[84:85], v[152:155]// 00000000B3E0: D3F30098 1E62A984
	ds_read_b128 a[32:35], v2 offset:35072                     // 00000000B3E8: DBFE8900 20000002
	ds_read_b128 a[36:39], v2 offset:35136                     // 00000000B3F0: DBFE8940 24000002
	v_mfma_f32_16x16x32_fp8_fp8 v[152:155], a[134:135], a[86:87], v[152:155]// 00000000B3F8: D3F30098 1E62AD86
	v_mfma_f32_16x16x32_fp8_fp8 v[184:187], a[136:137], a[80:81], v[184:187]// 00000000B400: D3F300B8 1EE2A188
	v_mfma_f32_16x16x32_fp8_fp8 v[184:187], a[138:139], a[82:83], v[184:187]// 00000000B408: D3F300B8 1EE2A58A
	v_mfma_f32_16x16x32_fp8_fp8 v[184:187], a[140:141], a[84:85], v[184:187]// 00000000B410: D3F300B8 1EE2A98C
	ds_read_b128 a[40:43], v2 offset:35584                     // 00000000B418: DBFE8B00 28000002
	ds_read_b128 a[44:47], v2 offset:35648                     // 00000000B420: DBFE8B40 2C000002
	v_mfma_f32_16x16x32_fp8_fp8 v[184:187], a[142:143], a[86:87], v[184:187]// 00000000B428: D3F300B8 1EE2AD8E
	v_mfma_f32_16x16x32_fp8_fp8 v[156:159], a[128:129], a[88:89], v[156:159]// 00000000B430: D3F3009C 1E72B180
	v_mfma_f32_16x16x32_fp8_fp8 v[156:159], a[130:131], a[90:91], v[156:159]// 00000000B438: D3F3009C 1E72B582
	v_mfma_f32_16x16x32_fp8_fp8 v[156:159], a[132:133], a[92:93], v[156:159]// 00000000B440: D3F3009C 1E72B984
	ds_read_b128 a[48:51], v2 offset:36096                     // 00000000B448: DBFE8D00 30000002
	ds_read_b128 a[52:55], v2 offset:36160                     // 00000000B450: DBFE8D40 34000002
	v_mfma_f32_16x16x32_fp8_fp8 v[156:159], a[134:135], a[94:95], v[156:159]// 00000000B458: D3F3009C 1E72BD86
	v_mfma_f32_16x16x32_fp8_fp8 v[188:191], a[136:137], a[88:89], v[188:191]// 00000000B460: D3F300BC 1EF2B188
	v_mfma_f32_16x16x32_fp8_fp8 v[188:191], a[138:139], a[90:91], v[188:191]// 00000000B468: D3F300BC 1EF2B58A
	v_mfma_f32_16x16x32_fp8_fp8 v[188:191], a[140:141], a[92:93], v[188:191]// 00000000B470: D3F300BC 1EF2B98C
	ds_read_b128 a[56:59], v2 offset:36608                     // 00000000B478: DBFE8F00 38000002
	ds_read_b128 a[60:63], v2 offset:36672                     // 00000000B480: DBFE8F40 3C000002
	v_mfma_f32_16x16x32_fp8_fp8 v[188:191], a[142:143], a[94:95], v[188:191]// 00000000B488: D3F300BC 1EF2BD8E
	v_mfma_f32_16x16x32_fp8_fp8 v[160:163], a[128:129], a[96:97], v[160:163]// 00000000B490: D3F300A0 1E82C180
	v_mfma_f32_16x16x32_fp8_fp8 v[160:163], a[130:131], a[98:99], v[160:163]// 00000000B498: D3F300A0 1E82C582
	v_mfma_f32_16x16x32_fp8_fp8 v[160:163], a[132:133], a[100:101], v[160:163]// 00000000B4A0: D3F300A0 1E82C984
	v_mfma_f32_16x16x32_fp8_fp8 v[160:163], a[134:135], a[102:103], v[160:163]// 00000000B4A8: D3F300A0 1E82CD86
	v_mfma_f32_16x16x32_fp8_fp8 v[192:195], a[136:137], a[96:97], v[192:195]// 00000000B4B0: D3F300C0 1F02C188
	v_mfma_f32_16x16x32_fp8_fp8 v[192:195], a[138:139], a[98:99], v[192:195]// 00000000B4B8: D3F300C0 1F02C58A
	v_mfma_f32_16x16x32_fp8_fp8 v[192:195], a[140:141], a[100:101], v[192:195]// 00000000B4C0: D3F300C0 1F02C98C
	v_mfma_f32_16x16x32_fp8_fp8 v[192:195], a[142:143], a[102:103], v[192:195]// 00000000B4C8: D3F300C0 1F02CD8E
	v_mfma_f32_16x16x32_fp8_fp8 v[164:167], a[128:129], a[104:105], v[164:167]// 00000000B4D0: D3F300A4 1E92D180
	v_mfma_f32_16x16x32_fp8_fp8 v[164:167], a[130:131], a[106:107], v[164:167]// 00000000B4D8: D3F300A4 1E92D582
	v_mfma_f32_16x16x32_fp8_fp8 v[164:167], a[132:133], a[108:109], v[164:167]// 00000000B4E0: D3F300A4 1E92D984
	v_mfma_f32_16x16x32_fp8_fp8 v[164:167], a[134:135], a[110:111], v[164:167]// 00000000B4E8: D3F300A4 1E92DD86
	v_mfma_f32_16x16x32_fp8_fp8 v[196:199], a[136:137], a[104:105], v[196:199]// 00000000B4F0: D3F300C4 1F12D188
	v_mfma_f32_16x16x32_fp8_fp8 v[196:199], a[138:139], a[106:107], v[196:199]// 00000000B4F8: D3F300C4 1F12D58A
	v_mfma_f32_16x16x32_fp8_fp8 v[196:199], a[140:141], a[108:109], v[196:199]// 00000000B500: D3F300C4 1F12D98C
	v_mfma_f32_16x16x32_fp8_fp8 v[196:199], a[142:143], a[110:111], v[196:199]// 00000000B508: D3F300C4 1F12DD8E
	v_mfma_f32_16x16x32_fp8_fp8 v[168:171], a[128:129], a[112:113], v[168:171]// 00000000B510: D3F300A8 1EA2E180
	v_mfma_f32_16x16x32_fp8_fp8 v[168:171], a[130:131], a[114:115], v[168:171]// 00000000B518: D3F300A8 1EA2E582
	v_mfma_f32_16x16x32_fp8_fp8 v[168:171], a[132:133], a[116:117], v[168:171]// 00000000B520: D3F300A8 1EA2E984
	v_mfma_f32_16x16x32_fp8_fp8 v[168:171], a[134:135], a[118:119], v[168:171]// 00000000B528: D3F300A8 1EA2ED86
	v_mfma_f32_16x16x32_fp8_fp8 v[200:203], a[136:137], a[112:113], v[200:203]// 00000000B530: D3F300C8 1F22E188
	v_mfma_f32_16x16x32_fp8_fp8 v[200:203], a[138:139], a[114:115], v[200:203]// 00000000B538: D3F300C8 1F22E58A
	v_mfma_f32_16x16x32_fp8_fp8 v[200:203], a[140:141], a[116:117], v[200:203]// 00000000B540: D3F300C8 1F22E98C
	v_mfma_f32_16x16x32_fp8_fp8 v[200:203], a[142:143], a[118:119], v[200:203]// 00000000B548: D3F300C8 1F22ED8E
	v_mfma_f32_16x16x32_fp8_fp8 v[172:175], a[128:129], a[120:121], v[172:175]// 00000000B550: D3F300AC 1EB2F180
	s_add_u32 s60, 0x180, s80                                  // 00000000B558: 803C50FF 00000180
	s_cmp_lt_u32 s60, s81                                      // 00000000B560: BF0A513C
	s_cselect_b32 s57, s57, 0                                  // 00000000B564: 85398039
	v_mfma_f32_16x16x32_fp8_fp8 v[172:175], a[130:131], a[122:123], v[172:175]// 00000000B568: D3F300AC 1EB2F582
	s_add_u32 s60, 0x100, s80                                  // 00000000B570: 803C50FF 00000100
	s_cmp_lt_u32 s60, s81                                      // 00000000B578: BF0A513C
	s_cselect_b32 s58, s58, 0                                  // 00000000B57C: 853A803A
	v_mfma_f32_16x16x32_fp8_fp8 v[172:175], a[132:133], a[124:125], v[172:175]// 00000000B580: D3F300AC 1EB2F984
	s_add_u32 s60, 0x100, s80                                  // 00000000B588: 803C50FF 00000100
	s_cmp_lt_u32 s60, s81                                      // 00000000B590: BF0A513C
	s_cselect_b32 s83, s83, 0                                  // 00000000B594: 85538053
	v_mfma_f32_16x16x32_fp8_fp8 v[172:175], a[134:135], a[126:127], v[172:175]// 00000000B598: D3F300AC 1EB2FD86
	s_add_u32 s24, s58, s24                                    // 00000000B5A0: 8018183A
	s_addc_u32 s25, 0, s25                                     // 00000000B5A4: 82191980
	v_mfma_f32_16x16x32_fp8_fp8 v[204:207], a[136:137], a[120:121], v[204:207]// 00000000B5A8: D3F300CC 1F32F188
	s_add_u32 s20, s57, s20                                    // 00000000B5B0: 80141439
	s_addc_u32 s21, 0, s21                                     // 00000000B5B4: 82151580
	v_mfma_f32_16x16x32_fp8_fp8 v[204:207], a[138:139], a[122:123], v[204:207]// 00000000B5B8: D3F300CC 1F32F58A
	s_add_u32 s84, s83, s84                                    // 00000000B5C0: 80545453
	s_addc_u32 s85, 0, s85                                     // 00000000B5C4: 82555580
	v_mfma_f32_16x16x32_fp8_fp8 v[204:207], a[140:141], a[124:125], v[204:207]// 00000000B5C8: D3F300CC 1F32F98C
	v_mfma_f32_16x16x32_fp8_fp8 v[204:207], a[142:143], a[126:127], v[204:207]// 00000000B5D0: D3F300CC 1F32FD8E
	s_addk_i32 s80, 0x80                                       // 00000000B5D8: B7500080
	s_cmp_lt_i32 s80, s81                                      // 00000000B5DC: BF045150
	s_cbranch_scc0 label_2919                                  // 00000000B5E0: BF84061D
	s_waitcnt vmcnt(20) lgkmcnt(0)                             // 00000000B5E4: BF8C4074
	v_mfma_f32_16x16x32_fp8_fp8 v[80:83], a[144:145], a[0:1], v[80:83]// 00000000B5E8: D3F30050 1D420190
	buffer_load_dwordx4 a[128:131], v78, s[24:27], 0 offen     // 00000000B5F0: E05C1000 8086804E
	v_mfma_f32_16x16x32_fp8_fp8 v[80:83], a[146:147], a[2:3], v[80:83]// 00000000B5F8: D3F30050 1D420592
	v_mfma_f32_16x16x32_fp8_fp8 v[80:83], a[148:149], a[4:5], v[80:83]// 00000000B600: D3F30050 1D420994
	v_mfma_f32_16x16x32_fp8_fp8 v[80:83], a[150:151], a[6:7], v[80:83]// 00000000B608: D3F30050 1D420D96
	v_mfma_f32_16x16x32_fp8_fp8 v[112:115], a[152:153], a[0:1], v[112:115]// 00000000B610: D3F30070 1DC20198
	buffer_load_dwordx4 a[132:135], v78, s[24:27], 0 offen offset:1024// 00000000B618: E05C1400 8086844E
	v_mfma_f32_16x16x32_fp8_fp8 v[112:115], a[154:155], a[2:3], v[112:115]// 00000000B620: D3F30070 1DC2059A
	v_mfma_f32_16x16x32_fp8_fp8 v[112:115], a[156:157], a[4:5], v[112:115]// 00000000B628: D3F30070 1DC2099C
	v_mfma_f32_16x16x32_fp8_fp8 v[112:115], a[158:159], a[6:7], v[112:115]// 00000000B630: D3F30070 1DC20D9E
	v_mfma_f32_16x16x32_fp8_fp8 v[84:87], a[144:145], a[8:9], v[84:87]// 00000000B638: D3F30054 1D521190
	buffer_load_dwordx4 a[136:139], v79, s[24:27], 0 offen     // 00000000B640: E05C1000 8086884F
	v_mfma_f32_16x16x32_fp8_fp8 v[84:87], a[146:147], a[10:11], v[84:87]// 00000000B648: D3F30054 1D521592
	v_mfma_f32_16x16x32_fp8_fp8 v[84:87], a[148:149], a[12:13], v[84:87]// 00000000B650: D3F30054 1D521994
	v_mfma_f32_16x16x32_fp8_fp8 v[84:87], a[150:151], a[14:15], v[84:87]// 00000000B658: D3F30054 1D521D96
	v_mfma_f32_16x16x32_fp8_fp8 v[116:119], a[152:153], a[8:9], v[116:119]// 00000000B660: D3F30074 1DD21198
	buffer_load_dwordx4 a[140:143], v79, s[24:27], 0 offen offset:1024// 00000000B668: E05C1400 80868C4F
	buffer_load_dword v62, s[20:23], 0 offen lds               // 00000000B670: E0511000 8005003E
	s_add_u32 m0, 0x100, s49                                   // 00000000B678: 807C31FF 00000100
	v_mfma_f32_16x16x32_fp8_fp8 v[116:119], a[154:155], a[10:11], v[116:119]// 00000000B680: D3F30074 1DD2159A
	v_mfma_f32_16x16x32_fp8_fp8 v[116:119], a[156:157], a[12:13], v[116:119]// 00000000B688: D3F30074 1DD2199C
	buffer_load_dword v63, s[20:23], 0 offen lds               // 00000000B690: E0511000 8005003F
	s_add_u32 m0, 0x200, s49                                   // 00000000B698: 807C31FF 00000200
	v_mfma_f32_16x16x32_fp8_fp8 v[116:119], a[158:159], a[14:15], v[116:119]// 00000000B6A0: D3F30074 1DD21D9E
	v_mfma_f32_16x16x32_fp8_fp8 v[88:91], a[144:145], a[16:17], v[88:91]// 00000000B6A8: D3F30058 1D622190
	buffer_load_dword v64, s[20:23], 0 offen lds               // 00000000B6B0: E0511000 80050040
	s_add_u32 m0, 0x300, s49                                   // 00000000B6B8: 807C31FF 00000300
	v_mfma_f32_16x16x32_fp8_fp8 v[88:91], a[146:147], a[18:19], v[88:91]// 00000000B6C0: D3F30058 1D622592
	v_mfma_f32_16x16x32_fp8_fp8 v[88:91], a[148:149], a[20:21], v[88:91]// 00000000B6C8: D3F30058 1D622994
	buffer_load_dword v65, s[20:23], 0 offen lds               // 00000000B6D0: E0511000 80050041
	s_add_u32 m0, 0x400, s49                                   // 00000000B6D8: 807C31FF 00000400
	v_mfma_f32_16x16x32_fp8_fp8 v[88:91], a[150:151], a[22:23], v[88:91]// 00000000B6E0: D3F30058 1D622D96
	v_mfma_f32_16x16x32_fp8_fp8 v[120:123], a[152:153], a[16:17], v[120:123]// 00000000B6E8: D3F30078 1DE22198
	buffer_load_dword v66, s[20:23], 0 offen lds               // 00000000B6F0: E0511000 80050042
	s_add_u32 m0, 0x500, s49                                   // 00000000B6F8: 807C31FF 00000500
	v_mfma_f32_16x16x32_fp8_fp8 v[120:123], a[154:155], a[18:19], v[120:123]// 00000000B700: D3F30078 1DE2259A
	v_mfma_f32_16x16x32_fp8_fp8 v[120:123], a[156:157], a[20:21], v[120:123]// 00000000B708: D3F30078 1DE2299C
	buffer_load_dword v67, s[20:23], 0 offen lds               // 00000000B710: E0511000 80050043
	s_add_u32 m0, 0x600, s49                                   // 00000000B718: 807C31FF 00000600
	v_mfma_f32_16x16x32_fp8_fp8 v[120:123], a[158:159], a[22:23], v[120:123]// 00000000B720: D3F30078 1DE22D9E
	v_mfma_f32_16x16x32_fp8_fp8 v[92:95], a[144:145], a[24:25], v[92:95]// 00000000B728: D3F3005C 1D723190
	buffer_load_dword v68, s[20:23], 0 offen lds               // 00000000B730: E0511000 80050044
	s_add_u32 m0, 0x700, s49                                   // 00000000B738: 807C31FF 00000700
	v_mfma_f32_16x16x32_fp8_fp8 v[92:95], a[146:147], a[26:27], v[92:95]// 00000000B740: D3F3005C 1D723592
	v_mfma_f32_16x16x32_fp8_fp8 v[92:95], a[148:149], a[28:29], v[92:95]// 00000000B748: D3F3005C 1D723994
	buffer_load_dword v69, s[20:23], 0 offen lds               // 00000000B750: E0511000 80050045
	s_add_u32 m0, 0x800, s49                                   // 00000000B758: 807C31FF 00000800
	v_mfma_f32_16x16x32_fp8_fp8 v[92:95], a[150:151], a[30:31], v[92:95]// 00000000B760: D3F3005C 1D723D96
	v_mfma_f32_16x16x32_fp8_fp8 v[124:127], a[152:153], a[24:25], v[124:127]// 00000000B768: D3F3007C 1DF23198
	buffer_load_dword v70, s[20:23], 0 offen lds               // 00000000B770: E0511000 80050046
	s_add_u32 m0, 0x900, s49                                   // 00000000B778: 807C31FF 00000900
	v_mfma_f32_16x16x32_fp8_fp8 v[124:127], a[154:155], a[26:27], v[124:127]// 00000000B780: D3F3007C 1DF2359A
	v_mfma_f32_16x16x32_fp8_fp8 v[124:127], a[156:157], a[28:29], v[124:127]// 00000000B788: D3F3007C 1DF2399C
	buffer_load_dword v71, s[20:23], 0 offen lds               // 00000000B790: E0511000 80050047
	s_add_u32 m0, 0xa00, s49                                   // 00000000B798: 807C31FF 00000A00
	v_mfma_f32_16x16x32_fp8_fp8 v[124:127], a[158:159], a[30:31], v[124:127]// 00000000B7A0: D3F3007C 1DF23D9E
	v_mfma_f32_16x16x32_fp8_fp8 v[96:99], a[144:145], a[32:33], v[96:99]// 00000000B7A8: D3F30060 1D824190
	v_mfma_f32_16x16x32_fp8_fp8 v[96:99], a[146:147], a[34:35], v[96:99]// 00000000B7B0: D3F30060 1D824592
	v_mfma_f32_16x16x32_fp8_fp8 v[96:99], a[148:149], a[36:37], v[96:99]// 00000000B7B8: D3F30060 1D824994
	v_mfma_f32_16x16x32_fp8_fp8 v[96:99], a[150:151], a[38:39], v[96:99]// 00000000B7C0: D3F30060 1D824D96
	v_mfma_f32_16x16x32_fp8_fp8 v[128:131], a[152:153], a[32:33], v[128:131]// 00000000B7C8: D3F30080 1E024198
	v_mfma_f32_16x16x32_fp8_fp8 v[128:131], a[154:155], a[34:35], v[128:131]// 00000000B7D0: D3F30080 1E02459A
	v_mfma_f32_16x16x32_fp8_fp8 v[128:131], a[156:157], a[36:37], v[128:131]// 00000000B7D8: D3F30080 1E02499C
	v_mfma_f32_16x16x32_fp8_fp8 v[128:131], a[158:159], a[38:39], v[128:131]// 00000000B7E0: D3F30080 1E024D9E
	v_mfma_f32_16x16x32_fp8_fp8 v[100:103], a[144:145], a[40:41], v[100:103]// 00000000B7E8: D3F30064 1D925190
	buffer_load_dword v72, s[20:23], 0 offen lds               // 00000000B7F0: E0511000 80050048
	s_add_u32 m0, 0xb00, s49                                   // 00000000B7F8: 807C31FF 00000B00
	v_mfma_f32_16x16x32_fp8_fp8 v[100:103], a[146:147], a[42:43], v[100:103]// 00000000B800: D3F30064 1D925592
	v_mfma_f32_16x16x32_fp8_fp8 v[100:103], a[148:149], a[44:45], v[100:103]// 00000000B808: D3F30064 1D925994
	buffer_load_dword v73, s[20:23], 0 offen lds               // 00000000B810: E0511000 80050049
	s_add_u32 m0, 0xc00, s49                                   // 00000000B818: 807C31FF 00000C00
	v_mfma_f32_16x16x32_fp8_fp8 v[100:103], a[150:151], a[46:47], v[100:103]// 00000000B820: D3F30064 1D925D96
	v_mfma_f32_16x16x32_fp8_fp8 v[132:135], a[152:153], a[40:41], v[132:135]// 00000000B828: D3F30084 1E125198
	buffer_load_dword v74, s[20:23], 0 offen lds               // 00000000B830: E0511000 8005004A
	s_add_u32 m0, 0xd00, s49                                   // 00000000B838: 807C31FF 00000D00
	v_mfma_f32_16x16x32_fp8_fp8 v[132:135], a[154:155], a[42:43], v[132:135]// 00000000B840: D3F30084 1E12559A
	v_mfma_f32_16x16x32_fp8_fp8 v[132:135], a[156:157], a[44:45], v[132:135]// 00000000B848: D3F30084 1E12599C
	buffer_load_dword v75, s[20:23], 0 offen lds               // 00000000B850: E0511000 8005004B
	s_add_u32 m0, 0xe00, s49                                   // 00000000B858: 807C31FF 00000E00
	v_mfma_f32_16x16x32_fp8_fp8 v[132:135], a[158:159], a[46:47], v[132:135]// 00000000B860: D3F30084 1E125D9E
	v_mfma_f32_16x16x32_fp8_fp8 v[104:107], a[144:145], a[48:49], v[104:107]// 00000000B868: D3F30068 1DA26190
	v_mfma_f32_16x16x32_fp8_fp8 v[104:107], a[146:147], a[50:51], v[104:107]// 00000000B870: D3F30068 1DA26592
	v_mfma_f32_16x16x32_fp8_fp8 v[104:107], a[148:149], a[52:53], v[104:107]// 00000000B878: D3F30068 1DA26994
	v_mfma_f32_16x16x32_fp8_fp8 v[104:107], a[150:151], a[54:55], v[104:107]// 00000000B880: D3F30068 1DA26D96
	v_mfma_f32_16x16x32_fp8_fp8 v[136:139], a[152:153], a[48:49], v[136:139]// 00000000B888: D3F30088 1E226198
	v_mfma_f32_16x16x32_fp8_fp8 v[136:139], a[154:155], a[50:51], v[136:139]// 00000000B890: D3F30088 1E22659A
	v_mfma_f32_16x16x32_fp8_fp8 v[136:139], a[156:157], a[52:53], v[136:139]// 00000000B898: D3F30088 1E22699C
	v_mfma_f32_16x16x32_fp8_fp8 v[136:139], a[158:159], a[54:55], v[136:139]// 00000000B8A0: D3F30088 1E226D9E
	v_mfma_f32_16x16x32_fp8_fp8 v[108:111], a[144:145], a[56:57], v[108:111]// 00000000B8A8: D3F3006C 1DB27190
	buffer_load_dword v76, s[20:23], 0 offen lds               // 00000000B8B0: E0511000 8005004C
	s_add_u32 m0, 0xf00, s49                                   // 00000000B8B8: 807C31FF 00000F00
	v_mfma_f32_16x16x32_fp8_fp8 v[108:111], a[146:147], a[58:59], v[108:111]// 00000000B8C0: D3F3006C 1DB27592
	v_mfma_f32_16x16x32_fp8_fp8 v[108:111], a[148:149], a[60:61], v[108:111]// 00000000B8C8: D3F3006C 1DB27994
	buffer_load_dword v77, s[20:23], 0 offen lds               // 00000000B8D0: E0511000 8005004D
	s_add_u32 m0, 0, s50                                       // 00000000B8D8: 807C3280
	v_mfma_f32_16x16x32_fp8_fp8 v[108:111], a[150:151], a[62:63], v[108:111]// 00000000B8DC: D3F3006C 1DB27D96
	v_mfma_f32_16x16x32_fp8_fp8 v[140:143], a[152:153], a[56:57], v[140:143]// 00000000B8E4: D3F3008C 1E327198
	v_mfma_f32_16x16x32_fp8_fp8 v[140:143], a[154:155], a[58:59], v[140:143]// 00000000B8EC: D3F3008C 1E32759A
	v_mfma_f32_16x16x32_fp8_fp8 v[140:143], a[156:157], a[60:61], v[140:143]// 00000000B8F4: D3F3008C 1E32799C
	v_mfma_f32_16x16x32_fp8_fp8 v[140:143], a[158:159], a[62:63], v[140:143]// 00000000B8FC: D3F3008C 1E327D9E
	s_waitcnt vmcnt(20)                                        // 00000000B904: BF8C4F74
	s_barrier                                                  // 00000000B908: BF8A0000
	v_mfma_f32_16x16x32_fp8_fp8 v[144:147], a[160:161], a[0:1], v[144:147]// 00000000B90C: D3F30090 1E4201A0
	buffer_load_dwordx4 a[144:147], v78, s[84:87], 0 offen     // 00000000B914: E05C1000 8095904E
	v_mfma_f32_16x16x32_fp8_fp8 v[144:147], a[162:163], a[2:3], v[144:147]// 00000000B91C: D3F30090 1E4205A2
	v_mfma_f32_16x16x32_fp8_fp8 v[144:147], a[164:165], a[4:5], v[144:147]// 00000000B924: D3F30090 1E4209A4
	ds_read_b128 a[64:67], v2                                  // 00000000B92C: DBFE0000 40000002
	ds_read_b128 a[68:71], v2 offset:64                        // 00000000B934: DBFE0040 44000002
	v_mfma_f32_16x16x32_fp8_fp8 v[144:147], a[166:167], a[6:7], v[144:147]// 00000000B93C: D3F30090 1E420DA6
	v_mfma_f32_16x16x32_fp8_fp8 v[176:179], a[168:169], a[0:1], v[176:179]// 00000000B944: D3F300B0 1EC201A8
	buffer_load_dwordx4 a[148:151], v78, s[84:87], 0 offen offset:1024// 00000000B94C: E05C1400 8095944E
	v_mfma_f32_16x16x32_fp8_fp8 v[176:179], a[170:171], a[2:3], v[176:179]// 00000000B954: D3F300B0 1EC205AA
	v_mfma_f32_16x16x32_fp8_fp8 v[176:179], a[172:173], a[4:5], v[176:179]// 00000000B95C: D3F300B0 1EC209AC
	ds_read_b128 a[72:75], v2 offset:512                       // 00000000B964: DBFE0200 48000002
	ds_read_b128 a[76:79], v2 offset:576                       // 00000000B96C: DBFE0240 4C000002
	v_mfma_f32_16x16x32_fp8_fp8 v[176:179], a[174:175], a[6:7], v[176:179]// 00000000B974: D3F300B0 1EC20DAE
	v_mfma_f32_16x16x32_fp8_fp8 v[148:151], a[160:161], a[8:9], v[148:151]// 00000000B97C: D3F30094 1E5211A0
	buffer_load_dwordx4 a[152:155], v79, s[84:87], 0 offen     // 00000000B984: E05C1000 8095984F
	v_mfma_f32_16x16x32_fp8_fp8 v[148:151], a[162:163], a[10:11], v[148:151]// 00000000B98C: D3F30094 1E5215A2
	v_mfma_f32_16x16x32_fp8_fp8 v[148:151], a[164:165], a[12:13], v[148:151]// 00000000B994: D3F30094 1E5219A4
	ds_read_b128 a[80:83], v2 offset:1024                      // 00000000B99C: DBFE0400 50000002
	ds_read_b128 a[84:87], v2 offset:1088                      // 00000000B9A4: DBFE0440 54000002
	v_mfma_f32_16x16x32_fp8_fp8 v[148:151], a[166:167], a[14:15], v[148:151]// 00000000B9AC: D3F30094 1E521DA6
	v_mfma_f32_16x16x32_fp8_fp8 v[180:183], a[168:169], a[8:9], v[180:183]// 00000000B9B4: D3F300B4 1ED211A8
	buffer_load_dwordx4 a[156:159], v79, s[84:87], 0 offen offset:1024// 00000000B9BC: E05C1400 80959C4F
	v_mfma_f32_16x16x32_fp8_fp8 v[180:183], a[170:171], a[10:11], v[180:183]// 00000000B9C4: D3F300B4 1ED215AA
	v_mfma_f32_16x16x32_fp8_fp8 v[180:183], a[172:173], a[12:13], v[180:183]// 00000000B9CC: D3F300B4 1ED219AC
	ds_read_b128 a[88:91], v2 offset:1536                      // 00000000B9D4: DBFE0600 58000002
	ds_read_b128 a[92:95], v2 offset:1600                      // 00000000B9DC: DBFE0640 5C000002
	v_mfma_f32_16x16x32_fp8_fp8 v[180:183], a[174:175], a[14:15], v[180:183]// 00000000B9E4: D3F300B4 1ED21DAE
	v_mfma_f32_16x16x32_fp8_fp8 v[152:155], a[160:161], a[16:17], v[152:155]// 00000000B9EC: D3F30098 1E6221A0
	v_mfma_f32_16x16x32_fp8_fp8 v[152:155], a[162:163], a[18:19], v[152:155]// 00000000B9F4: D3F30098 1E6225A2
	v_mfma_f32_16x16x32_fp8_fp8 v[152:155], a[164:165], a[20:21], v[152:155]// 00000000B9FC: D3F30098 1E6229A4
	ds_read_b128 a[96:99], v2 offset:2048                      // 00000000BA04: DBFE0800 60000002
	ds_read_b128 a[100:103], v2 offset:2112                    // 00000000BA0C: DBFE0840 64000002
	v_mfma_f32_16x16x32_fp8_fp8 v[152:155], a[166:167], a[22:23], v[152:155]// 00000000BA14: D3F30098 1E622DA6
	v_mfma_f32_16x16x32_fp8_fp8 v[184:187], a[168:169], a[16:17], v[184:187]// 00000000BA1C: D3F300B8 1EE221A8
	v_mfma_f32_16x16x32_fp8_fp8 v[184:187], a[170:171], a[18:19], v[184:187]// 00000000BA24: D3F300B8 1EE225AA
	v_mfma_f32_16x16x32_fp8_fp8 v[184:187], a[172:173], a[20:21], v[184:187]// 00000000BA2C: D3F300B8 1EE229AC
	ds_read_b128 a[104:107], v2 offset:2560                    // 00000000BA34: DBFE0A00 68000002
	ds_read_b128 a[108:111], v2 offset:2624                    // 00000000BA3C: DBFE0A40 6C000002
	v_mfma_f32_16x16x32_fp8_fp8 v[184:187], a[174:175], a[22:23], v[184:187]// 00000000BA44: D3F300B8 1EE22DAE
	v_mfma_f32_16x16x32_fp8_fp8 v[156:159], a[160:161], a[24:25], v[156:159]// 00000000BA4C: D3F3009C 1E7231A0
	v_mfma_f32_16x16x32_fp8_fp8 v[156:159], a[162:163], a[26:27], v[156:159]// 00000000BA54: D3F3009C 1E7235A2
	v_mfma_f32_16x16x32_fp8_fp8 v[156:159], a[164:165], a[28:29], v[156:159]// 00000000BA5C: D3F3009C 1E7239A4
	ds_read_b128 a[112:115], v2 offset:3072                    // 00000000BA64: DBFE0C00 70000002
	ds_read_b128 a[116:119], v2 offset:3136                    // 00000000BA6C: DBFE0C40 74000002
	v_mfma_f32_16x16x32_fp8_fp8 v[156:159], a[166:167], a[30:31], v[156:159]// 00000000BA74: D3F3009C 1E723DA6
	v_mfma_f32_16x16x32_fp8_fp8 v[188:191], a[168:169], a[24:25], v[188:191]// 00000000BA7C: D3F300BC 1EF231A8
	v_mfma_f32_16x16x32_fp8_fp8 v[188:191], a[170:171], a[26:27], v[188:191]// 00000000BA84: D3F300BC 1EF235AA
	v_mfma_f32_16x16x32_fp8_fp8 v[188:191], a[172:173], a[28:29], v[188:191]// 00000000BA8C: D3F300BC 1EF239AC
	ds_read_b128 a[120:123], v2 offset:3584                    // 00000000BA94: DBFE0E00 78000002
	ds_read_b128 a[124:127], v2 offset:3648                    // 00000000BA9C: DBFE0E40 7C000002
	v_mfma_f32_16x16x32_fp8_fp8 v[188:191], a[174:175], a[30:31], v[188:191]// 00000000BAA4: D3F300BC 1EF23DAE
	v_mfma_f32_16x16x32_fp8_fp8 v[160:163], a[160:161], a[32:33], v[160:163]// 00000000BAAC: D3F300A0 1E8241A0
	v_mfma_f32_16x16x32_fp8_fp8 v[160:163], a[162:163], a[34:35], v[160:163]// 00000000BAB4: D3F300A0 1E8245A2
	v_mfma_f32_16x16x32_fp8_fp8 v[160:163], a[164:165], a[36:37], v[160:163]// 00000000BABC: D3F300A0 1E8249A4
	v_mfma_f32_16x16x32_fp8_fp8 v[160:163], a[166:167], a[38:39], v[160:163]// 00000000BAC4: D3F300A0 1E824DA6
	v_mfma_f32_16x16x32_fp8_fp8 v[192:195], a[168:169], a[32:33], v[192:195]// 00000000BACC: D3F300C0 1F0241A8
	v_mfma_f32_16x16x32_fp8_fp8 v[192:195], a[170:171], a[34:35], v[192:195]// 00000000BAD4: D3F300C0 1F0245AA
	v_mfma_f32_16x16x32_fp8_fp8 v[192:195], a[172:173], a[36:37], v[192:195]// 00000000BADC: D3F300C0 1F0249AC
	v_mfma_f32_16x16x32_fp8_fp8 v[192:195], a[174:175], a[38:39], v[192:195]// 00000000BAE4: D3F300C0 1F024DAE
	v_mfma_f32_16x16x32_fp8_fp8 v[164:167], a[160:161], a[40:41], v[164:167]// 00000000BAEC: D3F300A4 1E9251A0
	v_mfma_f32_16x16x32_fp8_fp8 v[164:167], a[162:163], a[42:43], v[164:167]// 00000000BAF4: D3F300A4 1E9255A2
	v_mfma_f32_16x16x32_fp8_fp8 v[164:167], a[164:165], a[44:45], v[164:167]// 00000000BAFC: D3F300A4 1E9259A4
	v_mfma_f32_16x16x32_fp8_fp8 v[164:167], a[166:167], a[46:47], v[164:167]// 00000000BB04: D3F300A4 1E925DA6
	v_mfma_f32_16x16x32_fp8_fp8 v[196:199], a[168:169], a[40:41], v[196:199]// 00000000BB0C: D3F300C4 1F1251A8
	v_mfma_f32_16x16x32_fp8_fp8 v[196:199], a[170:171], a[42:43], v[196:199]// 00000000BB14: D3F300C4 1F1255AA
	v_mfma_f32_16x16x32_fp8_fp8 v[196:199], a[172:173], a[44:45], v[196:199]// 00000000BB1C: D3F300C4 1F1259AC
	v_mfma_f32_16x16x32_fp8_fp8 v[196:199], a[174:175], a[46:47], v[196:199]// 00000000BB24: D3F300C4 1F125DAE
	v_mfma_f32_16x16x32_fp8_fp8 v[168:171], a[160:161], a[48:49], v[168:171]// 00000000BB2C: D3F300A8 1EA261A0
	v_mfma_f32_16x16x32_fp8_fp8 v[168:171], a[162:163], a[50:51], v[168:171]// 00000000BB34: D3F300A8 1EA265A2
	v_mfma_f32_16x16x32_fp8_fp8 v[168:171], a[164:165], a[52:53], v[168:171]// 00000000BB3C: D3F300A8 1EA269A4
	v_mfma_f32_16x16x32_fp8_fp8 v[168:171], a[166:167], a[54:55], v[168:171]// 00000000BB44: D3F300A8 1EA26DA6
	v_mfma_f32_16x16x32_fp8_fp8 v[200:203], a[168:169], a[48:49], v[200:203]// 00000000BB4C: D3F300C8 1F2261A8
	v_mfma_f32_16x16x32_fp8_fp8 v[200:203], a[170:171], a[50:51], v[200:203]// 00000000BB54: D3F300C8 1F2265AA
	v_mfma_f32_16x16x32_fp8_fp8 v[200:203], a[172:173], a[52:53], v[200:203]// 00000000BB5C: D3F300C8 1F2269AC
	v_mfma_f32_16x16x32_fp8_fp8 v[200:203], a[174:175], a[54:55], v[200:203]// 00000000BB64: D3F300C8 1F226DAE
	v_mfma_f32_16x16x32_fp8_fp8 v[172:175], a[160:161], a[56:57], v[172:175]// 00000000BB6C: D3F300AC 1EB271A0
	s_add_u32 s60, 0x180, s80                                  // 00000000BB74: 803C50FF 00000180
	s_cmp_lt_u32 s60, s81                                      // 00000000BB7C: BF0A513C
	s_cselect_b32 s57, s57, 0                                  // 00000000BB80: 85398039
	v_mfma_f32_16x16x32_fp8_fp8 v[172:175], a[162:163], a[58:59], v[172:175]// 00000000BB84: D3F300AC 1EB275A2
	s_add_u32 s60, 0x100, s80                                  // 00000000BB8C: 803C50FF 00000100
	s_cmp_lt_u32 s60, s81                                      // 00000000BB94: BF0A513C
	s_cselect_b32 s58, s58, 0                                  // 00000000BB98: 853A803A
	v_mfma_f32_16x16x32_fp8_fp8 v[172:175], a[164:165], a[60:61], v[172:175]// 00000000BB9C: D3F300AC 1EB279A4
	s_add_u32 s60, 0x100, s80                                  // 00000000BBA4: 803C50FF 00000100
	s_cmp_lt_u32 s60, s81                                      // 00000000BBAC: BF0A513C
	s_cselect_b32 s83, s83, 0                                  // 00000000BBB0: 85538053
	v_mfma_f32_16x16x32_fp8_fp8 v[172:175], a[166:167], a[62:63], v[172:175]// 00000000BBB4: D3F300AC 1EB27DA6
	s_add_u32 s24, s58, s24                                    // 00000000BBBC: 8018183A
	s_addc_u32 s25, 0, s25                                     // 00000000BBC0: 82191980
	v_mfma_f32_16x16x32_fp8_fp8 v[204:207], a[168:169], a[56:57], v[204:207]// 00000000BBC4: D3F300CC 1F3271A8
	s_add_u32 s20, s57, s20                                    // 00000000BBCC: 80141439
	s_addc_u32 s21, 0, s21                                     // 00000000BBD0: 82151580
	v_mfma_f32_16x16x32_fp8_fp8 v[204:207], a[170:171], a[58:59], v[204:207]// 00000000BBD4: D3F300CC 1F3275AA
	s_add_u32 s84, s83, s84                                    // 00000000BBDC: 80545453
	s_addc_u32 s85, 0, s85                                     // 00000000BBE0: 82555580
	v_mfma_f32_16x16x32_fp8_fp8 v[204:207], a[172:173], a[60:61], v[204:207]// 00000000BBE4: D3F300CC 1F3279AC
	v_mfma_f32_16x16x32_fp8_fp8 v[204:207], a[174:175], a[62:63], v[204:207]// 00000000BBEC: D3F300CC 1F327DAE
	s_addk_i32 s80, 0x80                                       // 00000000BBF4: B7500080
	s_cmp_lt_i32 s80, s81                                      // 00000000BBF8: BF045150
	s_cbranch_scc0 label_2919                                  // 00000000BBFC: BF840496
	s_waitcnt vmcnt(20) lgkmcnt(0)                             // 00000000BC00: BF8C4074
	v_mfma_f32_16x16x32_fp8_fp8 v[80:83], a[128:129], a[64:65], v[80:83]// 00000000BC04: D3F30050 1D428180
	buffer_load_dwordx4 a[160:163], v78, s[24:27], 0 offen     // 00000000BC0C: E05C1000 8086A04E
	v_mfma_f32_16x16x32_fp8_fp8 v[80:83], a[130:131], a[66:67], v[80:83]// 00000000BC14: D3F30050 1D428582
	v_mfma_f32_16x16x32_fp8_fp8 v[80:83], a[132:133], a[68:69], v[80:83]// 00000000BC1C: D3F30050 1D428984
	v_mfma_f32_16x16x32_fp8_fp8 v[80:83], a[134:135], a[70:71], v[80:83]// 00000000BC24: D3F30050 1D428D86
	v_mfma_f32_16x16x32_fp8_fp8 v[112:115], a[136:137], a[64:65], v[112:115]// 00000000BC2C: D3F30070 1DC28188
	buffer_load_dwordx4 a[164:167], v78, s[24:27], 0 offen offset:1024// 00000000BC34: E05C1400 8086A44E
	v_mfma_f32_16x16x32_fp8_fp8 v[112:115], a[138:139], a[66:67], v[112:115]// 00000000BC3C: D3F30070 1DC2858A
	v_mfma_f32_16x16x32_fp8_fp8 v[112:115], a[140:141], a[68:69], v[112:115]// 00000000BC44: D3F30070 1DC2898C
	v_mfma_f32_16x16x32_fp8_fp8 v[112:115], a[142:143], a[70:71], v[112:115]// 00000000BC4C: D3F30070 1DC28D8E
	v_mfma_f32_16x16x32_fp8_fp8 v[84:87], a[128:129], a[72:73], v[84:87]// 00000000BC54: D3F30054 1D529180
	buffer_load_dwordx4 a[168:171], v79, s[24:27], 0 offen     // 00000000BC5C: E05C1000 8086A84F
	v_mfma_f32_16x16x32_fp8_fp8 v[84:87], a[130:131], a[74:75], v[84:87]// 00000000BC64: D3F30054 1D529582
	v_mfma_f32_16x16x32_fp8_fp8 v[84:87], a[132:133], a[76:77], v[84:87]// 00000000BC6C: D3F30054 1D529984
	v_mfma_f32_16x16x32_fp8_fp8 v[84:87], a[134:135], a[78:79], v[84:87]// 00000000BC74: D3F30054 1D529D86
	v_mfma_f32_16x16x32_fp8_fp8 v[116:119], a[136:137], a[72:73], v[116:119]// 00000000BC7C: D3F30074 1DD29188
	buffer_load_dwordx4 a[172:175], v79, s[24:27], 0 offen offset:1024// 00000000BC84: E05C1400 8086AC4F
	buffer_load_dword v62, s[20:23], 0 offen lds               // 00000000BC8C: E0511000 8005003E
	s_add_u32 m0, 0x100, s50                                   // 00000000BC94: 807C32FF 00000100
	v_mfma_f32_16x16x32_fp8_fp8 v[116:119], a[138:139], a[74:75], v[116:119]// 00000000BC9C: D3F30074 1DD2958A
	v_mfma_f32_16x16x32_fp8_fp8 v[116:119], a[140:141], a[76:77], v[116:119]// 00000000BCA4: D3F30074 1DD2998C
	buffer_load_dword v63, s[20:23], 0 offen lds               // 00000000BCAC: E0511000 8005003F
	s_add_u32 m0, 0x200, s50                                   // 00000000BCB4: 807C32FF 00000200
	v_mfma_f32_16x16x32_fp8_fp8 v[116:119], a[142:143], a[78:79], v[116:119]// 00000000BCBC: D3F30074 1DD29D8E
	v_mfma_f32_16x16x32_fp8_fp8 v[88:91], a[128:129], a[80:81], v[88:91]// 00000000BCC4: D3F30058 1D62A180
	buffer_load_dword v64, s[20:23], 0 offen lds               // 00000000BCCC: E0511000 80050040
	s_add_u32 m0, 0x300, s50                                   // 00000000BCD4: 807C32FF 00000300
	v_mfma_f32_16x16x32_fp8_fp8 v[88:91], a[130:131], a[82:83], v[88:91]// 00000000BCDC: D3F30058 1D62A582
	v_mfma_f32_16x16x32_fp8_fp8 v[88:91], a[132:133], a[84:85], v[88:91]// 00000000BCE4: D3F30058 1D62A984
	buffer_load_dword v65, s[20:23], 0 offen lds               // 00000000BCEC: E0511000 80050041
	s_add_u32 m0, 0x400, s50                                   // 00000000BCF4: 807C32FF 00000400
	v_mfma_f32_16x16x32_fp8_fp8 v[88:91], a[134:135], a[86:87], v[88:91]// 00000000BCFC: D3F30058 1D62AD86
	v_mfma_f32_16x16x32_fp8_fp8 v[120:123], a[136:137], a[80:81], v[120:123]// 00000000BD04: D3F30078 1DE2A188
	buffer_load_dword v66, s[20:23], 0 offen lds               // 00000000BD0C: E0511000 80050042
	s_add_u32 m0, 0x500, s50                                   // 00000000BD14: 807C32FF 00000500
	v_mfma_f32_16x16x32_fp8_fp8 v[120:123], a[138:139], a[82:83], v[120:123]// 00000000BD1C: D3F30078 1DE2A58A
	v_mfma_f32_16x16x32_fp8_fp8 v[120:123], a[140:141], a[84:85], v[120:123]// 00000000BD24: D3F30078 1DE2A98C
	buffer_load_dword v67, s[20:23], 0 offen lds               // 00000000BD2C: E0511000 80050043
	s_add_u32 m0, 0x600, s50                                   // 00000000BD34: 807C32FF 00000600
	v_mfma_f32_16x16x32_fp8_fp8 v[120:123], a[142:143], a[86:87], v[120:123]// 00000000BD3C: D3F30078 1DE2AD8E
	v_mfma_f32_16x16x32_fp8_fp8 v[92:95], a[128:129], a[88:89], v[92:95]// 00000000BD44: D3F3005C 1D72B180
	buffer_load_dword v68, s[20:23], 0 offen lds               // 00000000BD4C: E0511000 80050044
	s_add_u32 m0, 0x700, s50                                   // 00000000BD54: 807C32FF 00000700
	v_mfma_f32_16x16x32_fp8_fp8 v[92:95], a[130:131], a[90:91], v[92:95]// 00000000BD5C: D3F3005C 1D72B582
	v_mfma_f32_16x16x32_fp8_fp8 v[92:95], a[132:133], a[92:93], v[92:95]// 00000000BD64: D3F3005C 1D72B984
	buffer_load_dword v69, s[20:23], 0 offen lds               // 00000000BD6C: E0511000 80050045
	s_add_u32 m0, 0x800, s50                                   // 00000000BD74: 807C32FF 00000800
	v_mfma_f32_16x16x32_fp8_fp8 v[92:95], a[134:135], a[94:95], v[92:95]// 00000000BD7C: D3F3005C 1D72BD86
	v_mfma_f32_16x16x32_fp8_fp8 v[124:127], a[136:137], a[88:89], v[124:127]// 00000000BD84: D3F3007C 1DF2B188
	buffer_load_dword v70, s[20:23], 0 offen lds               // 00000000BD8C: E0511000 80050046
	s_add_u32 m0, 0x900, s50                                   // 00000000BD94: 807C32FF 00000900
	v_mfma_f32_16x16x32_fp8_fp8 v[124:127], a[138:139], a[90:91], v[124:127]// 00000000BD9C: D3F3007C 1DF2B58A
	v_mfma_f32_16x16x32_fp8_fp8 v[124:127], a[140:141], a[92:93], v[124:127]// 00000000BDA4: D3F3007C 1DF2B98C
	buffer_load_dword v71, s[20:23], 0 offen lds               // 00000000BDAC: E0511000 80050047
	s_add_u32 m0, 0xa00, s50                                   // 00000000BDB4: 807C32FF 00000A00
	v_mfma_f32_16x16x32_fp8_fp8 v[124:127], a[142:143], a[94:95], v[124:127]// 00000000BDBC: D3F3007C 1DF2BD8E
	v_mfma_f32_16x16x32_fp8_fp8 v[96:99], a[128:129], a[96:97], v[96:99]// 00000000BDC4: D3F30060 1D82C180
	v_mfma_f32_16x16x32_fp8_fp8 v[96:99], a[130:131], a[98:99], v[96:99]// 00000000BDCC: D3F30060 1D82C582
	v_mfma_f32_16x16x32_fp8_fp8 v[96:99], a[132:133], a[100:101], v[96:99]// 00000000BDD4: D3F30060 1D82C984
	v_mfma_f32_16x16x32_fp8_fp8 v[96:99], a[134:135], a[102:103], v[96:99]// 00000000BDDC: D3F30060 1D82CD86
	v_mfma_f32_16x16x32_fp8_fp8 v[128:131], a[136:137], a[96:97], v[128:131]// 00000000BDE4: D3F30080 1E02C188
	v_mfma_f32_16x16x32_fp8_fp8 v[128:131], a[138:139], a[98:99], v[128:131]// 00000000BDEC: D3F30080 1E02C58A
	v_mfma_f32_16x16x32_fp8_fp8 v[128:131], a[140:141], a[100:101], v[128:131]// 00000000BDF4: D3F30080 1E02C98C
	v_mfma_f32_16x16x32_fp8_fp8 v[128:131], a[142:143], a[102:103], v[128:131]// 00000000BDFC: D3F30080 1E02CD8E
	v_mfma_f32_16x16x32_fp8_fp8 v[100:103], a[128:129], a[104:105], v[100:103]// 00000000BE04: D3F30064 1D92D180
	buffer_load_dword v72, s[20:23], 0 offen lds               // 00000000BE0C: E0511000 80050048
	s_add_u32 m0, 0xb00, s50                                   // 00000000BE14: 807C32FF 00000B00
	v_mfma_f32_16x16x32_fp8_fp8 v[100:103], a[130:131], a[106:107], v[100:103]// 00000000BE1C: D3F30064 1D92D582
	v_mfma_f32_16x16x32_fp8_fp8 v[100:103], a[132:133], a[108:109], v[100:103]// 00000000BE24: D3F30064 1D92D984
	buffer_load_dword v73, s[20:23], 0 offen lds               // 00000000BE2C: E0511000 80050049
	s_add_u32 m0, 0xc00, s50                                   // 00000000BE34: 807C32FF 00000C00
	v_mfma_f32_16x16x32_fp8_fp8 v[100:103], a[134:135], a[110:111], v[100:103]// 00000000BE3C: D3F30064 1D92DD86
	v_mfma_f32_16x16x32_fp8_fp8 v[132:135], a[136:137], a[104:105], v[132:135]// 00000000BE44: D3F30084 1E12D188
	buffer_load_dword v74, s[20:23], 0 offen lds               // 00000000BE4C: E0511000 8005004A
	s_add_u32 m0, 0xd00, s50                                   // 00000000BE54: 807C32FF 00000D00
	v_mfma_f32_16x16x32_fp8_fp8 v[132:135], a[138:139], a[106:107], v[132:135]// 00000000BE5C: D3F30084 1E12D58A
	v_mfma_f32_16x16x32_fp8_fp8 v[132:135], a[140:141], a[108:109], v[132:135]// 00000000BE64: D3F30084 1E12D98C
	buffer_load_dword v75, s[20:23], 0 offen lds               // 00000000BE6C: E0511000 8005004B
	s_add_u32 m0, 0xe00, s50                                   // 00000000BE74: 807C32FF 00000E00
	v_mfma_f32_16x16x32_fp8_fp8 v[132:135], a[142:143], a[110:111], v[132:135]// 00000000BE7C: D3F30084 1E12DD8E
	v_mfma_f32_16x16x32_fp8_fp8 v[104:107], a[128:129], a[112:113], v[104:107]// 00000000BE84: D3F30068 1DA2E180
	v_mfma_f32_16x16x32_fp8_fp8 v[104:107], a[130:131], a[114:115], v[104:107]// 00000000BE8C: D3F30068 1DA2E582
	v_mfma_f32_16x16x32_fp8_fp8 v[104:107], a[132:133], a[116:117], v[104:107]// 00000000BE94: D3F30068 1DA2E984
	v_mfma_f32_16x16x32_fp8_fp8 v[104:107], a[134:135], a[118:119], v[104:107]// 00000000BE9C: D3F30068 1DA2ED86
	v_mfma_f32_16x16x32_fp8_fp8 v[136:139], a[136:137], a[112:113], v[136:139]// 00000000BEA4: D3F30088 1E22E188
	v_mfma_f32_16x16x32_fp8_fp8 v[136:139], a[138:139], a[114:115], v[136:139]// 00000000BEAC: D3F30088 1E22E58A
	v_mfma_f32_16x16x32_fp8_fp8 v[136:139], a[140:141], a[116:117], v[136:139]// 00000000BEB4: D3F30088 1E22E98C
	v_mfma_f32_16x16x32_fp8_fp8 v[136:139], a[142:143], a[118:119], v[136:139]// 00000000BEBC: D3F30088 1E22ED8E
	v_mfma_f32_16x16x32_fp8_fp8 v[108:111], a[128:129], a[120:121], v[108:111]// 00000000BEC4: D3F3006C 1DB2F180
	buffer_load_dword v76, s[20:23], 0 offen lds               // 00000000BECC: E0511000 8005004C
	s_add_u32 m0, 0xf00, s50                                   // 00000000BED4: 807C32FF 00000F00
	v_mfma_f32_16x16x32_fp8_fp8 v[108:111], a[130:131], a[122:123], v[108:111]// 00000000BEDC: D3F3006C 1DB2F582
	v_mfma_f32_16x16x32_fp8_fp8 v[108:111], a[132:133], a[124:125], v[108:111]// 00000000BEE4: D3F3006C 1DB2F984
	buffer_load_dword v77, s[20:23], 0 offen lds               // 00000000BEEC: E0511000 8005004D
	s_add_u32 m0, 0, s48                                       // 00000000BEF4: 807C3080
	v_mfma_f32_16x16x32_fp8_fp8 v[108:111], a[134:135], a[126:127], v[108:111]// 00000000BEF8: D3F3006C 1DB2FD86
	v_mfma_f32_16x16x32_fp8_fp8 v[140:143], a[136:137], a[120:121], v[140:143]// 00000000BF00: D3F3008C 1E32F188
	v_mfma_f32_16x16x32_fp8_fp8 v[140:143], a[138:139], a[122:123], v[140:143]// 00000000BF08: D3F3008C 1E32F58A
	v_mfma_f32_16x16x32_fp8_fp8 v[140:143], a[140:141], a[124:125], v[140:143]// 00000000BF10: D3F3008C 1E32F98C
	v_mfma_f32_16x16x32_fp8_fp8 v[140:143], a[142:143], a[126:127], v[140:143]// 00000000BF18: D3F3008C 1E32FD8E
	s_waitcnt vmcnt(20)                                        // 00000000BF20: BF8C4F74
	s_barrier                                                  // 00000000BF24: BF8A0000
	v_mfma_f32_16x16x32_fp8_fp8 v[144:147], a[144:145], a[64:65], v[144:147]// 00000000BF28: D3F30090 1E428190
	buffer_load_dwordx4 a[128:131], v78, s[84:87], 0 offen     // 00000000BF30: E05C1000 8095804E
	v_mfma_f32_16x16x32_fp8_fp8 v[144:147], a[146:147], a[66:67], v[144:147]// 00000000BF38: D3F30090 1E428592
	v_mfma_f32_16x16x32_fp8_fp8 v[144:147], a[148:149], a[68:69], v[144:147]// 00000000BF40: D3F30090 1E428994
	ds_read_b128 a[0:3], v2 offset:16512                       // 00000000BF48: DBFE4080 00000002
	ds_read_b128 a[4:7], v2 offset:16576                       // 00000000BF50: DBFE40C0 04000002
	v_mfma_f32_16x16x32_fp8_fp8 v[144:147], a[150:151], a[70:71], v[144:147]// 00000000BF58: D3F30090 1E428D96
	v_mfma_f32_16x16x32_fp8_fp8 v[176:179], a[152:153], a[64:65], v[176:179]// 00000000BF60: D3F300B0 1EC28198
	buffer_load_dwordx4 a[132:135], v78, s[84:87], 0 offen offset:1024// 00000000BF68: E05C1400 8095844E
	v_mfma_f32_16x16x32_fp8_fp8 v[176:179], a[154:155], a[66:67], v[176:179]// 00000000BF70: D3F300B0 1EC2859A
	v_mfma_f32_16x16x32_fp8_fp8 v[176:179], a[156:157], a[68:69], v[176:179]// 00000000BF78: D3F300B0 1EC2899C
	ds_read_b128 a[8:11], v2 offset:17024                      // 00000000BF80: DBFE4280 08000002
	ds_read_b128 a[12:15], v2 offset:17088                     // 00000000BF88: DBFE42C0 0C000002
	v_mfma_f32_16x16x32_fp8_fp8 v[176:179], a[158:159], a[70:71], v[176:179]// 00000000BF90: D3F300B0 1EC28D9E
	v_mfma_f32_16x16x32_fp8_fp8 v[148:151], a[144:145], a[72:73], v[148:151]// 00000000BF98: D3F30094 1E529190
	buffer_load_dwordx4 a[136:139], v79, s[84:87], 0 offen     // 00000000BFA0: E05C1000 8095884F
	v_mfma_f32_16x16x32_fp8_fp8 v[148:151], a[146:147], a[74:75], v[148:151]// 00000000BFA8: D3F30094 1E529592
	v_mfma_f32_16x16x32_fp8_fp8 v[148:151], a[148:149], a[76:77], v[148:151]// 00000000BFB0: D3F30094 1E529994
	ds_read_b128 a[16:19], v2 offset:17536                     // 00000000BFB8: DBFE4480 10000002
	ds_read_b128 a[20:23], v2 offset:17600                     // 00000000BFC0: DBFE44C0 14000002
	v_mfma_f32_16x16x32_fp8_fp8 v[148:151], a[150:151], a[78:79], v[148:151]// 00000000BFC8: D3F30094 1E529D96
	v_mfma_f32_16x16x32_fp8_fp8 v[180:183], a[152:153], a[72:73], v[180:183]// 00000000BFD0: D3F300B4 1ED29198
	buffer_load_dwordx4 a[140:143], v79, s[84:87], 0 offen offset:1024// 00000000BFD8: E05C1400 80958C4F
	v_mfma_f32_16x16x32_fp8_fp8 v[180:183], a[154:155], a[74:75], v[180:183]// 00000000BFE0: D3F300B4 1ED2959A
	v_mfma_f32_16x16x32_fp8_fp8 v[180:183], a[156:157], a[76:77], v[180:183]// 00000000BFE8: D3F300B4 1ED2999C
	ds_read_b128 a[24:27], v2 offset:18048                     // 00000000BFF0: DBFE4680 18000002
	ds_read_b128 a[28:31], v2 offset:18112                     // 00000000BFF8: DBFE46C0 1C000002
	v_mfma_f32_16x16x32_fp8_fp8 v[180:183], a[158:159], a[78:79], v[180:183]// 00000000C000: D3F300B4 1ED29D9E
	v_mfma_f32_16x16x32_fp8_fp8 v[152:155], a[144:145], a[80:81], v[152:155]// 00000000C008: D3F30098 1E62A190
	v_mfma_f32_16x16x32_fp8_fp8 v[152:155], a[146:147], a[82:83], v[152:155]// 00000000C010: D3F30098 1E62A592
	v_mfma_f32_16x16x32_fp8_fp8 v[152:155], a[148:149], a[84:85], v[152:155]// 00000000C018: D3F30098 1E62A994
	ds_read_b128 a[32:35], v2 offset:18560                     // 00000000C020: DBFE4880 20000002
	ds_read_b128 a[36:39], v2 offset:18624                     // 00000000C028: DBFE48C0 24000002
	v_mfma_f32_16x16x32_fp8_fp8 v[152:155], a[150:151], a[86:87], v[152:155]// 00000000C030: D3F30098 1E62AD96
	v_mfma_f32_16x16x32_fp8_fp8 v[184:187], a[152:153], a[80:81], v[184:187]// 00000000C038: D3F300B8 1EE2A198
	v_mfma_f32_16x16x32_fp8_fp8 v[184:187], a[154:155], a[82:83], v[184:187]// 00000000C040: D3F300B8 1EE2A59A
	v_mfma_f32_16x16x32_fp8_fp8 v[184:187], a[156:157], a[84:85], v[184:187]// 00000000C048: D3F300B8 1EE2A99C
	ds_read_b128 a[40:43], v2 offset:19072                     // 00000000C050: DBFE4A80 28000002
	ds_read_b128 a[44:47], v2 offset:19136                     // 00000000C058: DBFE4AC0 2C000002
	v_mfma_f32_16x16x32_fp8_fp8 v[184:187], a[158:159], a[86:87], v[184:187]// 00000000C060: D3F300B8 1EE2AD9E
	v_mfma_f32_16x16x32_fp8_fp8 v[156:159], a[144:145], a[88:89], v[156:159]// 00000000C068: D3F3009C 1E72B190
	v_mfma_f32_16x16x32_fp8_fp8 v[156:159], a[146:147], a[90:91], v[156:159]// 00000000C070: D3F3009C 1E72B592
	v_mfma_f32_16x16x32_fp8_fp8 v[156:159], a[148:149], a[92:93], v[156:159]// 00000000C078: D3F3009C 1E72B994
	ds_read_b128 a[48:51], v2 offset:19584                     // 00000000C080: DBFE4C80 30000002
	ds_read_b128 a[52:55], v2 offset:19648                     // 00000000C088: DBFE4CC0 34000002
	v_mfma_f32_16x16x32_fp8_fp8 v[156:159], a[150:151], a[94:95], v[156:159]// 00000000C090: D3F3009C 1E72BD96
	v_mfma_f32_16x16x32_fp8_fp8 v[188:191], a[152:153], a[88:89], v[188:191]// 00000000C098: D3F300BC 1EF2B198
	v_mfma_f32_16x16x32_fp8_fp8 v[188:191], a[154:155], a[90:91], v[188:191]// 00000000C0A0: D3F300BC 1EF2B59A
	v_mfma_f32_16x16x32_fp8_fp8 v[188:191], a[156:157], a[92:93], v[188:191]// 00000000C0A8: D3F300BC 1EF2B99C
	ds_read_b128 a[56:59], v2 offset:20096                     // 00000000C0B0: DBFE4E80 38000002
	ds_read_b128 a[60:63], v2 offset:20160                     // 00000000C0B8: DBFE4EC0 3C000002
	v_mfma_f32_16x16x32_fp8_fp8 v[188:191], a[158:159], a[94:95], v[188:191]// 00000000C0C0: D3F300BC 1EF2BD9E
	v_mfma_f32_16x16x32_fp8_fp8 v[160:163], a[144:145], a[96:97], v[160:163]// 00000000C0C8: D3F300A0 1E82C190
	v_mfma_f32_16x16x32_fp8_fp8 v[160:163], a[146:147], a[98:99], v[160:163]// 00000000C0D0: D3F300A0 1E82C592
	v_mfma_f32_16x16x32_fp8_fp8 v[160:163], a[148:149], a[100:101], v[160:163]// 00000000C0D8: D3F300A0 1E82C994
	v_mfma_f32_16x16x32_fp8_fp8 v[160:163], a[150:151], a[102:103], v[160:163]// 00000000C0E0: D3F300A0 1E82CD96
	v_mfma_f32_16x16x32_fp8_fp8 v[192:195], a[152:153], a[96:97], v[192:195]// 00000000C0E8: D3F300C0 1F02C198
	v_mfma_f32_16x16x32_fp8_fp8 v[192:195], a[154:155], a[98:99], v[192:195]// 00000000C0F0: D3F300C0 1F02C59A
	v_mfma_f32_16x16x32_fp8_fp8 v[192:195], a[156:157], a[100:101], v[192:195]// 00000000C0F8: D3F300C0 1F02C99C
	v_mfma_f32_16x16x32_fp8_fp8 v[192:195], a[158:159], a[102:103], v[192:195]// 00000000C100: D3F300C0 1F02CD9E
	v_mfma_f32_16x16x32_fp8_fp8 v[164:167], a[144:145], a[104:105], v[164:167]// 00000000C108: D3F300A4 1E92D190
	v_mfma_f32_16x16x32_fp8_fp8 v[164:167], a[146:147], a[106:107], v[164:167]// 00000000C110: D3F300A4 1E92D592
	v_mfma_f32_16x16x32_fp8_fp8 v[164:167], a[148:149], a[108:109], v[164:167]// 00000000C118: D3F300A4 1E92D994
	v_mfma_f32_16x16x32_fp8_fp8 v[164:167], a[150:151], a[110:111], v[164:167]// 00000000C120: D3F300A4 1E92DD96
	v_mfma_f32_16x16x32_fp8_fp8 v[196:199], a[152:153], a[104:105], v[196:199]// 00000000C128: D3F300C4 1F12D198
	v_mfma_f32_16x16x32_fp8_fp8 v[196:199], a[154:155], a[106:107], v[196:199]// 00000000C130: D3F300C4 1F12D59A
	v_mfma_f32_16x16x32_fp8_fp8 v[196:199], a[156:157], a[108:109], v[196:199]// 00000000C138: D3F300C4 1F12D99C
	v_mfma_f32_16x16x32_fp8_fp8 v[196:199], a[158:159], a[110:111], v[196:199]// 00000000C140: D3F300C4 1F12DD9E
	v_mfma_f32_16x16x32_fp8_fp8 v[168:171], a[144:145], a[112:113], v[168:171]// 00000000C148: D3F300A8 1EA2E190
	v_mfma_f32_16x16x32_fp8_fp8 v[168:171], a[146:147], a[114:115], v[168:171]// 00000000C150: D3F300A8 1EA2E592
	v_mfma_f32_16x16x32_fp8_fp8 v[168:171], a[148:149], a[116:117], v[168:171]// 00000000C158: D3F300A8 1EA2E994
	v_mfma_f32_16x16x32_fp8_fp8 v[168:171], a[150:151], a[118:119], v[168:171]// 00000000C160: D3F300A8 1EA2ED96
	v_mfma_f32_16x16x32_fp8_fp8 v[200:203], a[152:153], a[112:113], v[200:203]// 00000000C168: D3F300C8 1F22E198
	v_mfma_f32_16x16x32_fp8_fp8 v[200:203], a[154:155], a[114:115], v[200:203]// 00000000C170: D3F300C8 1F22E59A
	v_mfma_f32_16x16x32_fp8_fp8 v[200:203], a[156:157], a[116:117], v[200:203]// 00000000C178: D3F300C8 1F22E99C
	v_mfma_f32_16x16x32_fp8_fp8 v[200:203], a[158:159], a[118:119], v[200:203]// 00000000C180: D3F300C8 1F22ED9E
	v_mfma_f32_16x16x32_fp8_fp8 v[172:175], a[144:145], a[120:121], v[172:175]// 00000000C188: D3F300AC 1EB2F190
	s_add_u32 s60, 0x180, s80                                  // 00000000C190: 803C50FF 00000180
	s_cmp_lt_u32 s60, s81                                      // 00000000C198: BF0A513C
	s_cselect_b32 s57, s57, 0                                  // 00000000C19C: 85398039
	v_mfma_f32_16x16x32_fp8_fp8 v[172:175], a[146:147], a[122:123], v[172:175]// 00000000C1A0: D3F300AC 1EB2F592
	s_add_u32 s60, 0x100, s80                                  // 00000000C1A8: 803C50FF 00000100
	s_cmp_lt_u32 s60, s81                                      // 00000000C1B0: BF0A513C
	s_cselect_b32 s58, s58, 0                                  // 00000000C1B4: 853A803A
	v_mfma_f32_16x16x32_fp8_fp8 v[172:175], a[148:149], a[124:125], v[172:175]// 00000000C1B8: D3F300AC 1EB2F994
	s_add_u32 s60, 0x100, s80                                  // 00000000C1C0: 803C50FF 00000100
	s_cmp_lt_u32 s60, s81                                      // 00000000C1C8: BF0A513C
	s_cselect_b32 s83, s83, 0                                  // 00000000C1CC: 85538053
	v_mfma_f32_16x16x32_fp8_fp8 v[172:175], a[150:151], a[126:127], v[172:175]// 00000000C1D0: D3F300AC 1EB2FD96
	s_add_u32 s24, s58, s24                                    // 00000000C1D8: 8018183A
	s_addc_u32 s25, 0, s25                                     // 00000000C1DC: 82191980
	v_mfma_f32_16x16x32_fp8_fp8 v[204:207], a[152:153], a[120:121], v[204:207]// 00000000C1E0: D3F300CC 1F32F198
	s_add_u32 s20, s57, s20                                    // 00000000C1E8: 80141439
	s_addc_u32 s21, 0, s21                                     // 00000000C1EC: 82151580
	v_mfma_f32_16x16x32_fp8_fp8 v[204:207], a[154:155], a[122:123], v[204:207]// 00000000C1F0: D3F300CC 1F32F59A
	s_add_u32 s84, s83, s84                                    // 00000000C1F8: 80545453
	s_addc_u32 s85, 0, s85                                     // 00000000C1FC: 82555580
	v_mfma_f32_16x16x32_fp8_fp8 v[204:207], a[156:157], a[124:125], v[204:207]// 00000000C200: D3F300CC 1F32F99C
	v_mfma_f32_16x16x32_fp8_fp8 v[204:207], a[158:159], a[126:127], v[204:207]// 00000000C208: D3F300CC 1F32FD9E
	s_addk_i32 s80, 0x80                                       // 00000000C210: B7500080
	s_cmp_lt_i32 s80, s81                                      // 00000000C214: BF045150
	s_cbranch_scc0 label_2919                                  // 00000000C218: BF84030F
	s_waitcnt vmcnt(20) lgkmcnt(0)                             // 00000000C21C: BF8C4074
	v_mfma_f32_16x16x32_fp8_fp8 v[80:83], a[160:161], a[0:1], v[80:83]// 00000000C220: D3F30050 1D4201A0
	buffer_load_dwordx4 a[144:147], v78, s[24:27], 0 offen     // 00000000C228: E05C1000 8086904E
	v_mfma_f32_16x16x32_fp8_fp8 v[80:83], a[162:163], a[2:3], v[80:83]// 00000000C230: D3F30050 1D4205A2
	v_mfma_f32_16x16x32_fp8_fp8 v[80:83], a[164:165], a[4:5], v[80:83]// 00000000C238: D3F30050 1D4209A4
	v_mfma_f32_16x16x32_fp8_fp8 v[80:83], a[166:167], a[6:7], v[80:83]// 00000000C240: D3F30050 1D420DA6
	v_mfma_f32_16x16x32_fp8_fp8 v[112:115], a[168:169], a[0:1], v[112:115]// 00000000C248: D3F30070 1DC201A8
	buffer_load_dwordx4 a[148:151], v78, s[24:27], 0 offen offset:1024// 00000000C250: E05C1400 8086944E
	v_mfma_f32_16x16x32_fp8_fp8 v[112:115], a[170:171], a[2:3], v[112:115]// 00000000C258: D3F30070 1DC205AA
	v_mfma_f32_16x16x32_fp8_fp8 v[112:115], a[172:173], a[4:5], v[112:115]// 00000000C260: D3F30070 1DC209AC
	v_mfma_f32_16x16x32_fp8_fp8 v[112:115], a[174:175], a[6:7], v[112:115]// 00000000C268: D3F30070 1DC20DAE
	v_mfma_f32_16x16x32_fp8_fp8 v[84:87], a[160:161], a[8:9], v[84:87]// 00000000C270: D3F30054 1D5211A0
	buffer_load_dwordx4 a[152:155], v79, s[24:27], 0 offen     // 00000000C278: E05C1000 8086984F
	v_mfma_f32_16x16x32_fp8_fp8 v[84:87], a[162:163], a[10:11], v[84:87]// 00000000C280: D3F30054 1D5215A2
	v_mfma_f32_16x16x32_fp8_fp8 v[84:87], a[164:165], a[12:13], v[84:87]// 00000000C288: D3F30054 1D5219A4
	v_mfma_f32_16x16x32_fp8_fp8 v[84:87], a[166:167], a[14:15], v[84:87]// 00000000C290: D3F30054 1D521DA6
	v_mfma_f32_16x16x32_fp8_fp8 v[116:119], a[168:169], a[8:9], v[116:119]// 00000000C298: D3F30074 1DD211A8
	buffer_load_dwordx4 a[156:159], v79, s[24:27], 0 offen offset:1024// 00000000C2A0: E05C1400 80869C4F
	buffer_load_dword v62, s[20:23], 0 offen lds               // 00000000C2A8: E0511000 8005003E
	s_add_u32 m0, 0x100, s48                                   // 00000000C2B0: 807C30FF 00000100
	v_mfma_f32_16x16x32_fp8_fp8 v[116:119], a[170:171], a[10:11], v[116:119]// 00000000C2B8: D3F30074 1DD215AA
	v_mfma_f32_16x16x32_fp8_fp8 v[116:119], a[172:173], a[12:13], v[116:119]// 00000000C2C0: D3F30074 1DD219AC
	buffer_load_dword v63, s[20:23], 0 offen lds               // 00000000C2C8: E0511000 8005003F
	s_add_u32 m0, 0x200, s48                                   // 00000000C2D0: 807C30FF 00000200
	v_mfma_f32_16x16x32_fp8_fp8 v[116:119], a[174:175], a[14:15], v[116:119]// 00000000C2D8: D3F30074 1DD21DAE
	v_mfma_f32_16x16x32_fp8_fp8 v[88:91], a[160:161], a[16:17], v[88:91]// 00000000C2E0: D3F30058 1D6221A0
	buffer_load_dword v64, s[20:23], 0 offen lds               // 00000000C2E8: E0511000 80050040
	s_add_u32 m0, 0x300, s48                                   // 00000000C2F0: 807C30FF 00000300
	v_mfma_f32_16x16x32_fp8_fp8 v[88:91], a[162:163], a[18:19], v[88:91]// 00000000C2F8: D3F30058 1D6225A2
	v_mfma_f32_16x16x32_fp8_fp8 v[88:91], a[164:165], a[20:21], v[88:91]// 00000000C300: D3F30058 1D6229A4
	buffer_load_dword v65, s[20:23], 0 offen lds               // 00000000C308: E0511000 80050041
	s_add_u32 m0, 0x400, s48                                   // 00000000C310: 807C30FF 00000400
	v_mfma_f32_16x16x32_fp8_fp8 v[88:91], a[166:167], a[22:23], v[88:91]// 00000000C318: D3F30058 1D622DA6
	v_mfma_f32_16x16x32_fp8_fp8 v[120:123], a[168:169], a[16:17], v[120:123]// 00000000C320: D3F30078 1DE221A8
	buffer_load_dword v66, s[20:23], 0 offen lds               // 00000000C328: E0511000 80050042
	s_add_u32 m0, 0x500, s48                                   // 00000000C330: 807C30FF 00000500
	v_mfma_f32_16x16x32_fp8_fp8 v[120:123], a[170:171], a[18:19], v[120:123]// 00000000C338: D3F30078 1DE225AA
	v_mfma_f32_16x16x32_fp8_fp8 v[120:123], a[172:173], a[20:21], v[120:123]// 00000000C340: D3F30078 1DE229AC
	buffer_load_dword v67, s[20:23], 0 offen lds               // 00000000C348: E0511000 80050043
	s_add_u32 m0, 0x600, s48                                   // 00000000C350: 807C30FF 00000600
	v_mfma_f32_16x16x32_fp8_fp8 v[120:123], a[174:175], a[22:23], v[120:123]// 00000000C358: D3F30078 1DE22DAE
	v_mfma_f32_16x16x32_fp8_fp8 v[92:95], a[160:161], a[24:25], v[92:95]// 00000000C360: D3F3005C 1D7231A0
	buffer_load_dword v68, s[20:23], 0 offen lds               // 00000000C368: E0511000 80050044
	s_add_u32 m0, 0x700, s48                                   // 00000000C370: 807C30FF 00000700
	v_mfma_f32_16x16x32_fp8_fp8 v[92:95], a[162:163], a[26:27], v[92:95]// 00000000C378: D3F3005C 1D7235A2
	v_mfma_f32_16x16x32_fp8_fp8 v[92:95], a[164:165], a[28:29], v[92:95]// 00000000C380: D3F3005C 1D7239A4
	buffer_load_dword v69, s[20:23], 0 offen lds               // 00000000C388: E0511000 80050045
	s_add_u32 m0, 0x800, s48                                   // 00000000C390: 807C30FF 00000800
	v_mfma_f32_16x16x32_fp8_fp8 v[92:95], a[166:167], a[30:31], v[92:95]// 00000000C398: D3F3005C 1D723DA6
	v_mfma_f32_16x16x32_fp8_fp8 v[124:127], a[168:169], a[24:25], v[124:127]// 00000000C3A0: D3F3007C 1DF231A8
	buffer_load_dword v70, s[20:23], 0 offen lds               // 00000000C3A8: E0511000 80050046
	s_add_u32 m0, 0x900, s48                                   // 00000000C3B0: 807C30FF 00000900
	v_mfma_f32_16x16x32_fp8_fp8 v[124:127], a[170:171], a[26:27], v[124:127]// 00000000C3B8: D3F3007C 1DF235AA
	v_mfma_f32_16x16x32_fp8_fp8 v[124:127], a[172:173], a[28:29], v[124:127]// 00000000C3C0: D3F3007C 1DF239AC
	buffer_load_dword v71, s[20:23], 0 offen lds               // 00000000C3C8: E0511000 80050047
	s_add_u32 m0, 0xa00, s48                                   // 00000000C3D0: 807C30FF 00000A00
	v_mfma_f32_16x16x32_fp8_fp8 v[124:127], a[174:175], a[30:31], v[124:127]// 00000000C3D8: D3F3007C 1DF23DAE
	v_mfma_f32_16x16x32_fp8_fp8 v[96:99], a[160:161], a[32:33], v[96:99]// 00000000C3E0: D3F30060 1D8241A0
	v_mfma_f32_16x16x32_fp8_fp8 v[96:99], a[162:163], a[34:35], v[96:99]// 00000000C3E8: D3F30060 1D8245A2
	v_mfma_f32_16x16x32_fp8_fp8 v[96:99], a[164:165], a[36:37], v[96:99]// 00000000C3F0: D3F30060 1D8249A4
	v_mfma_f32_16x16x32_fp8_fp8 v[96:99], a[166:167], a[38:39], v[96:99]// 00000000C3F8: D3F30060 1D824DA6
	v_mfma_f32_16x16x32_fp8_fp8 v[128:131], a[168:169], a[32:33], v[128:131]// 00000000C400: D3F30080 1E0241A8
	v_mfma_f32_16x16x32_fp8_fp8 v[128:131], a[170:171], a[34:35], v[128:131]// 00000000C408: D3F30080 1E0245AA
	v_mfma_f32_16x16x32_fp8_fp8 v[128:131], a[172:173], a[36:37], v[128:131]// 00000000C410: D3F30080 1E0249AC
	v_mfma_f32_16x16x32_fp8_fp8 v[128:131], a[174:175], a[38:39], v[128:131]// 00000000C418: D3F30080 1E024DAE
	v_mfma_f32_16x16x32_fp8_fp8 v[100:103], a[160:161], a[40:41], v[100:103]// 00000000C420: D3F30064 1D9251A0
	buffer_load_dword v72, s[20:23], 0 offen lds               // 00000000C428: E0511000 80050048
	s_add_u32 m0, 0xb00, s48                                   // 00000000C430: 807C30FF 00000B00
	v_mfma_f32_16x16x32_fp8_fp8 v[100:103], a[162:163], a[42:43], v[100:103]// 00000000C438: D3F30064 1D9255A2
	v_mfma_f32_16x16x32_fp8_fp8 v[100:103], a[164:165], a[44:45], v[100:103]// 00000000C440: D3F30064 1D9259A4
	buffer_load_dword v73, s[20:23], 0 offen lds               // 00000000C448: E0511000 80050049
	s_add_u32 m0, 0xc00, s48                                   // 00000000C450: 807C30FF 00000C00
	v_mfma_f32_16x16x32_fp8_fp8 v[100:103], a[166:167], a[46:47], v[100:103]// 00000000C458: D3F30064 1D925DA6
	v_mfma_f32_16x16x32_fp8_fp8 v[132:135], a[168:169], a[40:41], v[132:135]// 00000000C460: D3F30084 1E1251A8
	buffer_load_dword v74, s[20:23], 0 offen lds               // 00000000C468: E0511000 8005004A
	s_add_u32 m0, 0xd00, s48                                   // 00000000C470: 807C30FF 00000D00
	v_mfma_f32_16x16x32_fp8_fp8 v[132:135], a[170:171], a[42:43], v[132:135]// 00000000C478: D3F30084 1E1255AA
	v_mfma_f32_16x16x32_fp8_fp8 v[132:135], a[172:173], a[44:45], v[132:135]// 00000000C480: D3F30084 1E1259AC
	buffer_load_dword v75, s[20:23], 0 offen lds               // 00000000C488: E0511000 8005004B
	s_add_u32 m0, 0xe00, s48                                   // 00000000C490: 807C30FF 00000E00
	v_mfma_f32_16x16x32_fp8_fp8 v[132:135], a[174:175], a[46:47], v[132:135]// 00000000C498: D3F30084 1E125DAE
	v_mfma_f32_16x16x32_fp8_fp8 v[104:107], a[160:161], a[48:49], v[104:107]// 00000000C4A0: D3F30068 1DA261A0
	v_mfma_f32_16x16x32_fp8_fp8 v[104:107], a[162:163], a[50:51], v[104:107]// 00000000C4A8: D3F30068 1DA265A2
	v_mfma_f32_16x16x32_fp8_fp8 v[104:107], a[164:165], a[52:53], v[104:107]// 00000000C4B0: D3F30068 1DA269A4
	v_mfma_f32_16x16x32_fp8_fp8 v[104:107], a[166:167], a[54:55], v[104:107]// 00000000C4B8: D3F30068 1DA26DA6
	v_mfma_f32_16x16x32_fp8_fp8 v[136:139], a[168:169], a[48:49], v[136:139]// 00000000C4C0: D3F30088 1E2261A8
	v_mfma_f32_16x16x32_fp8_fp8 v[136:139], a[170:171], a[50:51], v[136:139]// 00000000C4C8: D3F30088 1E2265AA
	v_mfma_f32_16x16x32_fp8_fp8 v[136:139], a[172:173], a[52:53], v[136:139]// 00000000C4D0: D3F30088 1E2269AC
	v_mfma_f32_16x16x32_fp8_fp8 v[136:139], a[174:175], a[54:55], v[136:139]// 00000000C4D8: D3F30088 1E226DAE
	v_mfma_f32_16x16x32_fp8_fp8 v[108:111], a[160:161], a[56:57], v[108:111]// 00000000C4E0: D3F3006C 1DB271A0
	buffer_load_dword v76, s[20:23], 0 offen lds               // 00000000C4E8: E0511000 8005004C
	s_add_u32 m0, 0xf00, s48                                   // 00000000C4F0: 807C30FF 00000F00
	v_mfma_f32_16x16x32_fp8_fp8 v[108:111], a[162:163], a[58:59], v[108:111]// 00000000C4F8: D3F3006C 1DB275A2
	v_mfma_f32_16x16x32_fp8_fp8 v[108:111], a[164:165], a[60:61], v[108:111]// 00000000C500: D3F3006C 1DB279A4
	buffer_load_dword v77, s[20:23], 0 offen lds               // 00000000C508: E0511000 8005004D
	s_add_u32 m0, 0, s49                                       // 00000000C510: 807C3180
	v_mfma_f32_16x16x32_fp8_fp8 v[108:111], a[166:167], a[62:63], v[108:111]// 00000000C514: D3F3006C 1DB27DA6
	v_mfma_f32_16x16x32_fp8_fp8 v[140:143], a[168:169], a[56:57], v[140:143]// 00000000C51C: D3F3008C 1E3271A8
	v_mfma_f32_16x16x32_fp8_fp8 v[140:143], a[170:171], a[58:59], v[140:143]// 00000000C524: D3F3008C 1E3275AA
	v_mfma_f32_16x16x32_fp8_fp8 v[140:143], a[172:173], a[60:61], v[140:143]// 00000000C52C: D3F3008C 1E3279AC
	v_mfma_f32_16x16x32_fp8_fp8 v[140:143], a[174:175], a[62:63], v[140:143]// 00000000C534: D3F3008C 1E327DAE
	s_waitcnt vmcnt(20)                                        // 00000000C53C: BF8C4F74
	s_barrier                                                  // 00000000C540: BF8A0000
	v_mfma_f32_16x16x32_fp8_fp8 v[144:147], a[128:129], a[0:1], v[144:147]// 00000000C544: D3F30090 1E420180
	buffer_load_dwordx4 a[160:163], v78, s[84:87], 0 offen     // 00000000C54C: E05C1000 8095A04E
	v_mfma_f32_16x16x32_fp8_fp8 v[144:147], a[130:131], a[2:3], v[144:147]// 00000000C554: D3F30090 1E420582
	v_mfma_f32_16x16x32_fp8_fp8 v[144:147], a[132:133], a[4:5], v[144:147]// 00000000C55C: D3F30090 1E420984
	ds_read_b128 a[64:67], v2 offset:33024                     // 00000000C564: DBFE8100 40000002
	ds_read_b128 a[68:71], v2 offset:33088                     // 00000000C56C: DBFE8140 44000002
	v_mfma_f32_16x16x32_fp8_fp8 v[144:147], a[134:135], a[6:7], v[144:147]// 00000000C574: D3F30090 1E420D86
	v_mfma_f32_16x16x32_fp8_fp8 v[176:179], a[136:137], a[0:1], v[176:179]// 00000000C57C: D3F300B0 1EC20188
	buffer_load_dwordx4 a[164:167], v78, s[84:87], 0 offen offset:1024// 00000000C584: E05C1400 8095A44E
	v_mfma_f32_16x16x32_fp8_fp8 v[176:179], a[138:139], a[2:3], v[176:179]// 00000000C58C: D3F300B0 1EC2058A
	v_mfma_f32_16x16x32_fp8_fp8 v[176:179], a[140:141], a[4:5], v[176:179]// 00000000C594: D3F300B0 1EC2098C
	ds_read_b128 a[72:75], v2 offset:33536                     // 00000000C59C: DBFE8300 48000002
	ds_read_b128 a[76:79], v2 offset:33600                     // 00000000C5A4: DBFE8340 4C000002
	v_mfma_f32_16x16x32_fp8_fp8 v[176:179], a[142:143], a[6:7], v[176:179]// 00000000C5AC: D3F300B0 1EC20D8E
	v_mfma_f32_16x16x32_fp8_fp8 v[148:151], a[128:129], a[8:9], v[148:151]// 00000000C5B4: D3F30094 1E521180
	buffer_load_dwordx4 a[168:171], v79, s[84:87], 0 offen     // 00000000C5BC: E05C1000 8095A84F
	v_mfma_f32_16x16x32_fp8_fp8 v[148:151], a[130:131], a[10:11], v[148:151]// 00000000C5C4: D3F30094 1E521582
	v_mfma_f32_16x16x32_fp8_fp8 v[148:151], a[132:133], a[12:13], v[148:151]// 00000000C5CC: D3F30094 1E521984
	ds_read_b128 a[80:83], v2 offset:34048                     // 00000000C5D4: DBFE8500 50000002
	ds_read_b128 a[84:87], v2 offset:34112                     // 00000000C5DC: DBFE8540 54000002
	v_mfma_f32_16x16x32_fp8_fp8 v[148:151], a[134:135], a[14:15], v[148:151]// 00000000C5E4: D3F30094 1E521D86
	v_mfma_f32_16x16x32_fp8_fp8 v[180:183], a[136:137], a[8:9], v[180:183]// 00000000C5EC: D3F300B4 1ED21188
	buffer_load_dwordx4 a[172:175], v79, s[84:87], 0 offen offset:1024// 00000000C5F4: E05C1400 8095AC4F
	v_mfma_f32_16x16x32_fp8_fp8 v[180:183], a[138:139], a[10:11], v[180:183]// 00000000C5FC: D3F300B4 1ED2158A
	v_mfma_f32_16x16x32_fp8_fp8 v[180:183], a[140:141], a[12:13], v[180:183]// 00000000C604: D3F300B4 1ED2198C
	ds_read_b128 a[88:91], v2 offset:34560                     // 00000000C60C: DBFE8700 58000002
	ds_read_b128 a[92:95], v2 offset:34624                     // 00000000C614: DBFE8740 5C000002
	v_mfma_f32_16x16x32_fp8_fp8 v[180:183], a[142:143], a[14:15], v[180:183]// 00000000C61C: D3F300B4 1ED21D8E
	v_mfma_f32_16x16x32_fp8_fp8 v[152:155], a[128:129], a[16:17], v[152:155]// 00000000C624: D3F30098 1E622180
	v_mfma_f32_16x16x32_fp8_fp8 v[152:155], a[130:131], a[18:19], v[152:155]// 00000000C62C: D3F30098 1E622582
	v_mfma_f32_16x16x32_fp8_fp8 v[152:155], a[132:133], a[20:21], v[152:155]// 00000000C634: D3F30098 1E622984
	ds_read_b128 a[96:99], v2 offset:35072                     // 00000000C63C: DBFE8900 60000002
	ds_read_b128 a[100:103], v2 offset:35136                   // 00000000C644: DBFE8940 64000002
	v_mfma_f32_16x16x32_fp8_fp8 v[152:155], a[134:135], a[22:23], v[152:155]// 00000000C64C: D3F30098 1E622D86
	v_mfma_f32_16x16x32_fp8_fp8 v[184:187], a[136:137], a[16:17], v[184:187]// 00000000C654: D3F300B8 1EE22188
	v_mfma_f32_16x16x32_fp8_fp8 v[184:187], a[138:139], a[18:19], v[184:187]// 00000000C65C: D3F300B8 1EE2258A
	v_mfma_f32_16x16x32_fp8_fp8 v[184:187], a[140:141], a[20:21], v[184:187]// 00000000C664: D3F300B8 1EE2298C
	ds_read_b128 a[104:107], v2 offset:35584                   // 00000000C66C: DBFE8B00 68000002
	ds_read_b128 a[108:111], v2 offset:35648                   // 00000000C674: DBFE8B40 6C000002
	v_mfma_f32_16x16x32_fp8_fp8 v[184:187], a[142:143], a[22:23], v[184:187]// 00000000C67C: D3F300B8 1EE22D8E
	v_mfma_f32_16x16x32_fp8_fp8 v[156:159], a[128:129], a[24:25], v[156:159]// 00000000C684: D3F3009C 1E723180
	v_mfma_f32_16x16x32_fp8_fp8 v[156:159], a[130:131], a[26:27], v[156:159]// 00000000C68C: D3F3009C 1E723582
	v_mfma_f32_16x16x32_fp8_fp8 v[156:159], a[132:133], a[28:29], v[156:159]// 00000000C694: D3F3009C 1E723984
	ds_read_b128 a[112:115], v2 offset:36096                   // 00000000C69C: DBFE8D00 70000002
	ds_read_b128 a[116:119], v2 offset:36160                   // 00000000C6A4: DBFE8D40 74000002
	v_mfma_f32_16x16x32_fp8_fp8 v[156:159], a[134:135], a[30:31], v[156:159]// 00000000C6AC: D3F3009C 1E723D86
	v_mfma_f32_16x16x32_fp8_fp8 v[188:191], a[136:137], a[24:25], v[188:191]// 00000000C6B4: D3F300BC 1EF23188
	v_mfma_f32_16x16x32_fp8_fp8 v[188:191], a[138:139], a[26:27], v[188:191]// 00000000C6BC: D3F300BC 1EF2358A
	v_mfma_f32_16x16x32_fp8_fp8 v[188:191], a[140:141], a[28:29], v[188:191]// 00000000C6C4: D3F300BC 1EF2398C
	ds_read_b128 a[120:123], v2 offset:36608                   // 00000000C6CC: DBFE8F00 78000002
	ds_read_b128 a[124:127], v2 offset:36672                   // 00000000C6D4: DBFE8F40 7C000002
	v_mfma_f32_16x16x32_fp8_fp8 v[188:191], a[142:143], a[30:31], v[188:191]// 00000000C6DC: D3F300BC 1EF23D8E
	v_mfma_f32_16x16x32_fp8_fp8 v[160:163], a[128:129], a[32:33], v[160:163]// 00000000C6E4: D3F300A0 1E824180
	v_mfma_f32_16x16x32_fp8_fp8 v[160:163], a[130:131], a[34:35], v[160:163]// 00000000C6EC: D3F300A0 1E824582
	v_mfma_f32_16x16x32_fp8_fp8 v[160:163], a[132:133], a[36:37], v[160:163]// 00000000C6F4: D3F300A0 1E824984
	v_mfma_f32_16x16x32_fp8_fp8 v[160:163], a[134:135], a[38:39], v[160:163]// 00000000C6FC: D3F300A0 1E824D86
	v_mfma_f32_16x16x32_fp8_fp8 v[192:195], a[136:137], a[32:33], v[192:195]// 00000000C704: D3F300C0 1F024188
	v_mfma_f32_16x16x32_fp8_fp8 v[192:195], a[138:139], a[34:35], v[192:195]// 00000000C70C: D3F300C0 1F02458A
	v_mfma_f32_16x16x32_fp8_fp8 v[192:195], a[140:141], a[36:37], v[192:195]// 00000000C714: D3F300C0 1F02498C
	v_mfma_f32_16x16x32_fp8_fp8 v[192:195], a[142:143], a[38:39], v[192:195]// 00000000C71C: D3F300C0 1F024D8E
	v_mfma_f32_16x16x32_fp8_fp8 v[164:167], a[128:129], a[40:41], v[164:167]// 00000000C724: D3F300A4 1E925180
	v_mfma_f32_16x16x32_fp8_fp8 v[164:167], a[130:131], a[42:43], v[164:167]// 00000000C72C: D3F300A4 1E925582
	v_mfma_f32_16x16x32_fp8_fp8 v[164:167], a[132:133], a[44:45], v[164:167]// 00000000C734: D3F300A4 1E925984
	v_mfma_f32_16x16x32_fp8_fp8 v[164:167], a[134:135], a[46:47], v[164:167]// 00000000C73C: D3F300A4 1E925D86
	v_mfma_f32_16x16x32_fp8_fp8 v[196:199], a[136:137], a[40:41], v[196:199]// 00000000C744: D3F300C4 1F125188
	v_mfma_f32_16x16x32_fp8_fp8 v[196:199], a[138:139], a[42:43], v[196:199]// 00000000C74C: D3F300C4 1F12558A
	v_mfma_f32_16x16x32_fp8_fp8 v[196:199], a[140:141], a[44:45], v[196:199]// 00000000C754: D3F300C4 1F12598C
	v_mfma_f32_16x16x32_fp8_fp8 v[196:199], a[142:143], a[46:47], v[196:199]// 00000000C75C: D3F300C4 1F125D8E
	v_mfma_f32_16x16x32_fp8_fp8 v[168:171], a[128:129], a[48:49], v[168:171]// 00000000C764: D3F300A8 1EA26180
	v_mfma_f32_16x16x32_fp8_fp8 v[168:171], a[130:131], a[50:51], v[168:171]// 00000000C76C: D3F300A8 1EA26582
	v_mfma_f32_16x16x32_fp8_fp8 v[168:171], a[132:133], a[52:53], v[168:171]// 00000000C774: D3F300A8 1EA26984
	v_mfma_f32_16x16x32_fp8_fp8 v[168:171], a[134:135], a[54:55], v[168:171]// 00000000C77C: D3F300A8 1EA26D86
	v_mfma_f32_16x16x32_fp8_fp8 v[200:203], a[136:137], a[48:49], v[200:203]// 00000000C784: D3F300C8 1F226188
	v_mfma_f32_16x16x32_fp8_fp8 v[200:203], a[138:139], a[50:51], v[200:203]// 00000000C78C: D3F300C8 1F22658A
	v_mfma_f32_16x16x32_fp8_fp8 v[200:203], a[140:141], a[52:53], v[200:203]// 00000000C794: D3F300C8 1F22698C
	v_mfma_f32_16x16x32_fp8_fp8 v[200:203], a[142:143], a[54:55], v[200:203]// 00000000C79C: D3F300C8 1F226D8E
	v_mfma_f32_16x16x32_fp8_fp8 v[172:175], a[128:129], a[56:57], v[172:175]// 00000000C7A4: D3F300AC 1EB27180
	s_add_u32 s60, 0x180, s80                                  // 00000000C7AC: 803C50FF 00000180
	s_cmp_lt_u32 s60, s81                                      // 00000000C7B4: BF0A513C
	s_cselect_b32 s57, s57, 0                                  // 00000000C7B8: 85398039
	v_mfma_f32_16x16x32_fp8_fp8 v[172:175], a[130:131], a[58:59], v[172:175]// 00000000C7BC: D3F300AC 1EB27582
	s_add_u32 s60, 0x100, s80                                  // 00000000C7C4: 803C50FF 00000100
	s_cmp_lt_u32 s60, s81                                      // 00000000C7CC: BF0A513C
	s_cselect_b32 s58, s58, 0                                  // 00000000C7D0: 853A803A
	v_mfma_f32_16x16x32_fp8_fp8 v[172:175], a[132:133], a[60:61], v[172:175]// 00000000C7D4: D3F300AC 1EB27984
	s_add_u32 s60, 0x100, s80                                  // 00000000C7DC: 803C50FF 00000100
	s_cmp_lt_u32 s60, s81                                      // 00000000C7E4: BF0A513C
	s_cselect_b32 s83, s83, 0                                  // 00000000C7E8: 85538053
	v_mfma_f32_16x16x32_fp8_fp8 v[172:175], a[134:135], a[62:63], v[172:175]// 00000000C7EC: D3F300AC 1EB27D86
	s_add_u32 s24, s58, s24                                    // 00000000C7F4: 8018183A
	s_addc_u32 s25, 0, s25                                     // 00000000C7F8: 82191980
	v_mfma_f32_16x16x32_fp8_fp8 v[204:207], a[136:137], a[56:57], v[204:207]// 00000000C7FC: D3F300CC 1F327188
	s_add_u32 s20, s57, s20                                    // 00000000C804: 80141439
	s_addc_u32 s21, 0, s21                                     // 00000000C808: 82151580
	v_mfma_f32_16x16x32_fp8_fp8 v[204:207], a[138:139], a[58:59], v[204:207]// 00000000C80C: D3F300CC 1F32758A
	s_add_u32 s84, s83, s84                                    // 00000000C814: 80545453
	s_addc_u32 s85, 0, s85                                     // 00000000C818: 82555580
	v_mfma_f32_16x16x32_fp8_fp8 v[204:207], a[140:141], a[60:61], v[204:207]// 00000000C81C: D3F300CC 1F32798C
	v_mfma_f32_16x16x32_fp8_fp8 v[204:207], a[142:143], a[62:63], v[204:207]// 00000000C824: D3F300CC 1F327D8E
	s_addk_i32 s80, 0x80                                       // 00000000C82C: B7500080
	s_cmp_lt_i32 s80, s81                                      // 00000000C830: BF045150
	s_cbranch_scc0 label_2919                                  // 00000000C834: BF840188
	s_waitcnt vmcnt(20) lgkmcnt(0)                             // 00000000C838: BF8C4074
	v_mfma_f32_16x16x32_fp8_fp8 v[80:83], a[144:145], a[64:65], v[80:83]// 00000000C83C: D3F30050 1D428190
	buffer_load_dwordx4 a[128:131], v78, s[24:27], 0 offen     // 00000000C844: E05C1000 8086804E
	v_mfma_f32_16x16x32_fp8_fp8 v[80:83], a[146:147], a[66:67], v[80:83]// 00000000C84C: D3F30050 1D428592
	v_mfma_f32_16x16x32_fp8_fp8 v[80:83], a[148:149], a[68:69], v[80:83]// 00000000C854: D3F30050 1D428994
	v_mfma_f32_16x16x32_fp8_fp8 v[80:83], a[150:151], a[70:71], v[80:83]// 00000000C85C: D3F30050 1D428D96
	v_mfma_f32_16x16x32_fp8_fp8 v[112:115], a[152:153], a[64:65], v[112:115]// 00000000C864: D3F30070 1DC28198
	buffer_load_dwordx4 a[132:135], v78, s[24:27], 0 offen offset:1024// 00000000C86C: E05C1400 8086844E
	v_mfma_f32_16x16x32_fp8_fp8 v[112:115], a[154:155], a[66:67], v[112:115]// 00000000C874: D3F30070 1DC2859A
	v_mfma_f32_16x16x32_fp8_fp8 v[112:115], a[156:157], a[68:69], v[112:115]// 00000000C87C: D3F30070 1DC2899C
	v_mfma_f32_16x16x32_fp8_fp8 v[112:115], a[158:159], a[70:71], v[112:115]// 00000000C884: D3F30070 1DC28D9E
	v_mfma_f32_16x16x32_fp8_fp8 v[84:87], a[144:145], a[72:73], v[84:87]// 00000000C88C: D3F30054 1D529190
	buffer_load_dwordx4 a[136:139], v79, s[24:27], 0 offen     // 00000000C894: E05C1000 8086884F
	v_mfma_f32_16x16x32_fp8_fp8 v[84:87], a[146:147], a[74:75], v[84:87]// 00000000C89C: D3F30054 1D529592
	v_mfma_f32_16x16x32_fp8_fp8 v[84:87], a[148:149], a[76:77], v[84:87]// 00000000C8A4: D3F30054 1D529994
	v_mfma_f32_16x16x32_fp8_fp8 v[84:87], a[150:151], a[78:79], v[84:87]// 00000000C8AC: D3F30054 1D529D96
	v_mfma_f32_16x16x32_fp8_fp8 v[116:119], a[152:153], a[72:73], v[116:119]// 00000000C8B4: D3F30074 1DD29198
	buffer_load_dwordx4 a[140:143], v79, s[24:27], 0 offen offset:1024// 00000000C8BC: E05C1400 80868C4F
	buffer_load_dword v62, s[20:23], 0 offen lds               // 00000000C8C4: E0511000 8005003E
	s_add_u32 m0, 0x100, s49                                   // 00000000C8CC: 807C31FF 00000100
	v_mfma_f32_16x16x32_fp8_fp8 v[116:119], a[154:155], a[74:75], v[116:119]// 00000000C8D4: D3F30074 1DD2959A
	v_mfma_f32_16x16x32_fp8_fp8 v[116:119], a[156:157], a[76:77], v[116:119]// 00000000C8DC: D3F30074 1DD2999C
	buffer_load_dword v63, s[20:23], 0 offen lds               // 00000000C8E4: E0511000 8005003F
	s_add_u32 m0, 0x200, s49                                   // 00000000C8EC: 807C31FF 00000200
	v_mfma_f32_16x16x32_fp8_fp8 v[116:119], a[158:159], a[78:79], v[116:119]// 00000000C8F4: D3F30074 1DD29D9E
	v_mfma_f32_16x16x32_fp8_fp8 v[88:91], a[144:145], a[80:81], v[88:91]// 00000000C8FC: D3F30058 1D62A190
	buffer_load_dword v64, s[20:23], 0 offen lds               // 00000000C904: E0511000 80050040
	s_add_u32 m0, 0x300, s49                                   // 00000000C90C: 807C31FF 00000300
	v_mfma_f32_16x16x32_fp8_fp8 v[88:91], a[146:147], a[82:83], v[88:91]// 00000000C914: D3F30058 1D62A592
	v_mfma_f32_16x16x32_fp8_fp8 v[88:91], a[148:149], a[84:85], v[88:91]// 00000000C91C: D3F30058 1D62A994
	buffer_load_dword v65, s[20:23], 0 offen lds               // 00000000C924: E0511000 80050041
	s_add_u32 m0, 0x400, s49                                   // 00000000C92C: 807C31FF 00000400
	v_mfma_f32_16x16x32_fp8_fp8 v[88:91], a[150:151], a[86:87], v[88:91]// 00000000C934: D3F30058 1D62AD96
	v_mfma_f32_16x16x32_fp8_fp8 v[120:123], a[152:153], a[80:81], v[120:123]// 00000000C93C: D3F30078 1DE2A198
	buffer_load_dword v66, s[20:23], 0 offen lds               // 00000000C944: E0511000 80050042
	s_add_u32 m0, 0x500, s49                                   // 00000000C94C: 807C31FF 00000500
	v_mfma_f32_16x16x32_fp8_fp8 v[120:123], a[154:155], a[82:83], v[120:123]// 00000000C954: D3F30078 1DE2A59A
	v_mfma_f32_16x16x32_fp8_fp8 v[120:123], a[156:157], a[84:85], v[120:123]// 00000000C95C: D3F30078 1DE2A99C
	buffer_load_dword v67, s[20:23], 0 offen lds               // 00000000C964: E0511000 80050043
	s_add_u32 m0, 0x600, s49                                   // 00000000C96C: 807C31FF 00000600
	v_mfma_f32_16x16x32_fp8_fp8 v[120:123], a[158:159], a[86:87], v[120:123]// 00000000C974: D3F30078 1DE2AD9E
	v_mfma_f32_16x16x32_fp8_fp8 v[92:95], a[144:145], a[88:89], v[92:95]// 00000000C97C: D3F3005C 1D72B190
	buffer_load_dword v68, s[20:23], 0 offen lds               // 00000000C984: E0511000 80050044
	s_add_u32 m0, 0x700, s49                                   // 00000000C98C: 807C31FF 00000700
	v_mfma_f32_16x16x32_fp8_fp8 v[92:95], a[146:147], a[90:91], v[92:95]// 00000000C994: D3F3005C 1D72B592
	v_mfma_f32_16x16x32_fp8_fp8 v[92:95], a[148:149], a[92:93], v[92:95]// 00000000C99C: D3F3005C 1D72B994
	buffer_load_dword v69, s[20:23], 0 offen lds               // 00000000C9A4: E0511000 80050045
	s_add_u32 m0, 0x800, s49                                   // 00000000C9AC: 807C31FF 00000800
	v_mfma_f32_16x16x32_fp8_fp8 v[92:95], a[150:151], a[94:95], v[92:95]// 00000000C9B4: D3F3005C 1D72BD96
	v_mfma_f32_16x16x32_fp8_fp8 v[124:127], a[152:153], a[88:89], v[124:127]// 00000000C9BC: D3F3007C 1DF2B198
	buffer_load_dword v70, s[20:23], 0 offen lds               // 00000000C9C4: E0511000 80050046
	s_add_u32 m0, 0x900, s49                                   // 00000000C9CC: 807C31FF 00000900
	v_mfma_f32_16x16x32_fp8_fp8 v[124:127], a[154:155], a[90:91], v[124:127]// 00000000C9D4: D3F3007C 1DF2B59A
	v_mfma_f32_16x16x32_fp8_fp8 v[124:127], a[156:157], a[92:93], v[124:127]// 00000000C9DC: D3F3007C 1DF2B99C
	buffer_load_dword v71, s[20:23], 0 offen lds               // 00000000C9E4: E0511000 80050047
	s_add_u32 m0, 0xa00, s49                                   // 00000000C9EC: 807C31FF 00000A00
	v_mfma_f32_16x16x32_fp8_fp8 v[124:127], a[158:159], a[94:95], v[124:127]// 00000000C9F4: D3F3007C 1DF2BD9E
	v_mfma_f32_16x16x32_fp8_fp8 v[96:99], a[144:145], a[96:97], v[96:99]// 00000000C9FC: D3F30060 1D82C190
	v_mfma_f32_16x16x32_fp8_fp8 v[96:99], a[146:147], a[98:99], v[96:99]// 00000000CA04: D3F30060 1D82C592
	v_mfma_f32_16x16x32_fp8_fp8 v[96:99], a[148:149], a[100:101], v[96:99]// 00000000CA0C: D3F30060 1D82C994
	v_mfma_f32_16x16x32_fp8_fp8 v[96:99], a[150:151], a[102:103], v[96:99]// 00000000CA14: D3F30060 1D82CD96
	v_mfma_f32_16x16x32_fp8_fp8 v[128:131], a[152:153], a[96:97], v[128:131]// 00000000CA1C: D3F30080 1E02C198
	v_mfma_f32_16x16x32_fp8_fp8 v[128:131], a[154:155], a[98:99], v[128:131]// 00000000CA24: D3F30080 1E02C59A
	v_mfma_f32_16x16x32_fp8_fp8 v[128:131], a[156:157], a[100:101], v[128:131]// 00000000CA2C: D3F30080 1E02C99C
	v_mfma_f32_16x16x32_fp8_fp8 v[128:131], a[158:159], a[102:103], v[128:131]// 00000000CA34: D3F30080 1E02CD9E
	v_mfma_f32_16x16x32_fp8_fp8 v[100:103], a[144:145], a[104:105], v[100:103]// 00000000CA3C: D3F30064 1D92D190
	buffer_load_dword v72, s[20:23], 0 offen lds               // 00000000CA44: E0511000 80050048
	s_add_u32 m0, 0xb00, s49                                   // 00000000CA4C: 807C31FF 00000B00
	v_mfma_f32_16x16x32_fp8_fp8 v[100:103], a[146:147], a[106:107], v[100:103]// 00000000CA54: D3F30064 1D92D592
	v_mfma_f32_16x16x32_fp8_fp8 v[100:103], a[148:149], a[108:109], v[100:103]// 00000000CA5C: D3F30064 1D92D994
	buffer_load_dword v73, s[20:23], 0 offen lds               // 00000000CA64: E0511000 80050049
	s_add_u32 m0, 0xc00, s49                                   // 00000000CA6C: 807C31FF 00000C00
	v_mfma_f32_16x16x32_fp8_fp8 v[100:103], a[150:151], a[110:111], v[100:103]// 00000000CA74: D3F30064 1D92DD96
	v_mfma_f32_16x16x32_fp8_fp8 v[132:135], a[152:153], a[104:105], v[132:135]// 00000000CA7C: D3F30084 1E12D198
	buffer_load_dword v74, s[20:23], 0 offen lds               // 00000000CA84: E0511000 8005004A
	s_add_u32 m0, 0xd00, s49                                   // 00000000CA8C: 807C31FF 00000D00
	v_mfma_f32_16x16x32_fp8_fp8 v[132:135], a[154:155], a[106:107], v[132:135]// 00000000CA94: D3F30084 1E12D59A
	v_mfma_f32_16x16x32_fp8_fp8 v[132:135], a[156:157], a[108:109], v[132:135]// 00000000CA9C: D3F30084 1E12D99C
	buffer_load_dword v75, s[20:23], 0 offen lds               // 00000000CAA4: E0511000 8005004B
	s_add_u32 m0, 0xe00, s49                                   // 00000000CAAC: 807C31FF 00000E00
	v_mfma_f32_16x16x32_fp8_fp8 v[132:135], a[158:159], a[110:111], v[132:135]// 00000000CAB4: D3F30084 1E12DD9E
	v_mfma_f32_16x16x32_fp8_fp8 v[104:107], a[144:145], a[112:113], v[104:107]// 00000000CABC: D3F30068 1DA2E190
	v_mfma_f32_16x16x32_fp8_fp8 v[104:107], a[146:147], a[114:115], v[104:107]// 00000000CAC4: D3F30068 1DA2E592
	v_mfma_f32_16x16x32_fp8_fp8 v[104:107], a[148:149], a[116:117], v[104:107]// 00000000CACC: D3F30068 1DA2E994
	v_mfma_f32_16x16x32_fp8_fp8 v[104:107], a[150:151], a[118:119], v[104:107]// 00000000CAD4: D3F30068 1DA2ED96
	v_mfma_f32_16x16x32_fp8_fp8 v[136:139], a[152:153], a[112:113], v[136:139]// 00000000CADC: D3F30088 1E22E198
	v_mfma_f32_16x16x32_fp8_fp8 v[136:139], a[154:155], a[114:115], v[136:139]// 00000000CAE4: D3F30088 1E22E59A
	v_mfma_f32_16x16x32_fp8_fp8 v[136:139], a[156:157], a[116:117], v[136:139]// 00000000CAEC: D3F30088 1E22E99C
	v_mfma_f32_16x16x32_fp8_fp8 v[136:139], a[158:159], a[118:119], v[136:139]// 00000000CAF4: D3F30088 1E22ED9E
	v_mfma_f32_16x16x32_fp8_fp8 v[108:111], a[144:145], a[120:121], v[108:111]// 00000000CAFC: D3F3006C 1DB2F190
	buffer_load_dword v76, s[20:23], 0 offen lds               // 00000000CB04: E0511000 8005004C
	s_add_u32 m0, 0xf00, s49                                   // 00000000CB0C: 807C31FF 00000F00
	v_mfma_f32_16x16x32_fp8_fp8 v[108:111], a[146:147], a[122:123], v[108:111]// 00000000CB14: D3F3006C 1DB2F592
	v_mfma_f32_16x16x32_fp8_fp8 v[108:111], a[148:149], a[124:125], v[108:111]// 00000000CB1C: D3F3006C 1DB2F994
	buffer_load_dword v77, s[20:23], 0 offen lds               // 00000000CB24: E0511000 8005004D
	s_add_u32 m0, 0, s50                                       // 00000000CB2C: 807C3280
	v_mfma_f32_16x16x32_fp8_fp8 v[108:111], a[150:151], a[126:127], v[108:111]// 00000000CB30: D3F3006C 1DB2FD96
	v_mfma_f32_16x16x32_fp8_fp8 v[140:143], a[152:153], a[120:121], v[140:143]// 00000000CB38: D3F3008C 1E32F198
	v_mfma_f32_16x16x32_fp8_fp8 v[140:143], a[154:155], a[122:123], v[140:143]// 00000000CB40: D3F3008C 1E32F59A
	v_mfma_f32_16x16x32_fp8_fp8 v[140:143], a[156:157], a[124:125], v[140:143]// 00000000CB48: D3F3008C 1E32F99C
	v_mfma_f32_16x16x32_fp8_fp8 v[140:143], a[158:159], a[126:127], v[140:143]// 00000000CB50: D3F3008C 1E32FD9E
	s_waitcnt vmcnt(20)                                        // 00000000CB58: BF8C4F74
	s_barrier                                                  // 00000000CB5C: BF8A0000
	v_mfma_f32_16x16x32_fp8_fp8 v[144:147], a[160:161], a[64:65], v[144:147]// 00000000CB60: D3F30090 1E4281A0
	buffer_load_dwordx4 a[144:147], v78, s[84:87], 0 offen     // 00000000CB68: E05C1000 8095904E
	v_mfma_f32_16x16x32_fp8_fp8 v[144:147], a[162:163], a[66:67], v[144:147]// 00000000CB70: D3F30090 1E4285A2
	v_mfma_f32_16x16x32_fp8_fp8 v[144:147], a[164:165], a[68:69], v[144:147]// 00000000CB78: D3F30090 1E4289A4
	ds_read_b128 a[0:3], v2                                    // 00000000CB80: DBFE0000 00000002
	ds_read_b128 a[4:7], v2 offset:64                          // 00000000CB88: DBFE0040 04000002
	v_mfma_f32_16x16x32_fp8_fp8 v[144:147], a[166:167], a[70:71], v[144:147]// 00000000CB90: D3F30090 1E428DA6
	v_mfma_f32_16x16x32_fp8_fp8 v[176:179], a[168:169], a[64:65], v[176:179]// 00000000CB98: D3F300B0 1EC281A8
	buffer_load_dwordx4 a[148:151], v78, s[84:87], 0 offen offset:1024// 00000000CBA0: E05C1400 8095944E
	v_mfma_f32_16x16x32_fp8_fp8 v[176:179], a[170:171], a[66:67], v[176:179]// 00000000CBA8: D3F300B0 1EC285AA
	v_mfma_f32_16x16x32_fp8_fp8 v[176:179], a[172:173], a[68:69], v[176:179]// 00000000CBB0: D3F300B0 1EC289AC
	ds_read_b128 a[8:11], v2 offset:512                        // 00000000CBB8: DBFE0200 08000002
	ds_read_b128 a[12:15], v2 offset:576                       // 00000000CBC0: DBFE0240 0C000002
	v_mfma_f32_16x16x32_fp8_fp8 v[176:179], a[174:175], a[70:71], v[176:179]// 00000000CBC8: D3F300B0 1EC28DAE
	v_mfma_f32_16x16x32_fp8_fp8 v[148:151], a[160:161], a[72:73], v[148:151]// 00000000CBD0: D3F30094 1E5291A0
	buffer_load_dwordx4 a[152:155], v79, s[84:87], 0 offen     // 00000000CBD8: E05C1000 8095984F
	v_mfma_f32_16x16x32_fp8_fp8 v[148:151], a[162:163], a[74:75], v[148:151]// 00000000CBE0: D3F30094 1E5295A2
	v_mfma_f32_16x16x32_fp8_fp8 v[148:151], a[164:165], a[76:77], v[148:151]// 00000000CBE8: D3F30094 1E5299A4
	ds_read_b128 a[16:19], v2 offset:1024                      // 00000000CBF0: DBFE0400 10000002
	ds_read_b128 a[20:23], v2 offset:1088                      // 00000000CBF8: DBFE0440 14000002
	v_mfma_f32_16x16x32_fp8_fp8 v[148:151], a[166:167], a[78:79], v[148:151]// 00000000CC00: D3F30094 1E529DA6
	v_mfma_f32_16x16x32_fp8_fp8 v[180:183], a[168:169], a[72:73], v[180:183]// 00000000CC08: D3F300B4 1ED291A8
	buffer_load_dwordx4 a[156:159], v79, s[84:87], 0 offen offset:1024// 00000000CC10: E05C1400 80959C4F
	v_mfma_f32_16x16x32_fp8_fp8 v[180:183], a[170:171], a[74:75], v[180:183]// 00000000CC18: D3F300B4 1ED295AA
	v_mfma_f32_16x16x32_fp8_fp8 v[180:183], a[172:173], a[76:77], v[180:183]// 00000000CC20: D3F300B4 1ED299AC
	ds_read_b128 a[24:27], v2 offset:1536                      // 00000000CC28: DBFE0600 18000002
	ds_read_b128 a[28:31], v2 offset:1600                      // 00000000CC30: DBFE0640 1C000002
	v_mfma_f32_16x16x32_fp8_fp8 v[180:183], a[174:175], a[78:79], v[180:183]// 00000000CC38: D3F300B4 1ED29DAE
	v_mfma_f32_16x16x32_fp8_fp8 v[152:155], a[160:161], a[80:81], v[152:155]// 00000000CC40: D3F30098 1E62A1A0
	v_mfma_f32_16x16x32_fp8_fp8 v[152:155], a[162:163], a[82:83], v[152:155]// 00000000CC48: D3F30098 1E62A5A2
	v_mfma_f32_16x16x32_fp8_fp8 v[152:155], a[164:165], a[84:85], v[152:155]// 00000000CC50: D3F30098 1E62A9A4
	ds_read_b128 a[32:35], v2 offset:2048                      // 00000000CC58: DBFE0800 20000002
	ds_read_b128 a[36:39], v2 offset:2112                      // 00000000CC60: DBFE0840 24000002
	v_mfma_f32_16x16x32_fp8_fp8 v[152:155], a[166:167], a[86:87], v[152:155]// 00000000CC68: D3F30098 1E62ADA6
	v_mfma_f32_16x16x32_fp8_fp8 v[184:187], a[168:169], a[80:81], v[184:187]// 00000000CC70: D3F300B8 1EE2A1A8
	v_mfma_f32_16x16x32_fp8_fp8 v[184:187], a[170:171], a[82:83], v[184:187]// 00000000CC78: D3F300B8 1EE2A5AA
	v_mfma_f32_16x16x32_fp8_fp8 v[184:187], a[172:173], a[84:85], v[184:187]// 00000000CC80: D3F300B8 1EE2A9AC
	ds_read_b128 a[40:43], v2 offset:2560                      // 00000000CC88: DBFE0A00 28000002
	ds_read_b128 a[44:47], v2 offset:2624                      // 00000000CC90: DBFE0A40 2C000002
	v_mfma_f32_16x16x32_fp8_fp8 v[184:187], a[174:175], a[86:87], v[184:187]// 00000000CC98: D3F300B8 1EE2ADAE
	v_mfma_f32_16x16x32_fp8_fp8 v[156:159], a[160:161], a[88:89], v[156:159]// 00000000CCA0: D3F3009C 1E72B1A0
	v_mfma_f32_16x16x32_fp8_fp8 v[156:159], a[162:163], a[90:91], v[156:159]// 00000000CCA8: D3F3009C 1E72B5A2
	v_mfma_f32_16x16x32_fp8_fp8 v[156:159], a[164:165], a[92:93], v[156:159]// 00000000CCB0: D3F3009C 1E72B9A4
	ds_read_b128 a[48:51], v2 offset:3072                      // 00000000CCB8: DBFE0C00 30000002
	ds_read_b128 a[52:55], v2 offset:3136                      // 00000000CCC0: DBFE0C40 34000002
	v_mfma_f32_16x16x32_fp8_fp8 v[156:159], a[166:167], a[94:95], v[156:159]// 00000000CCC8: D3F3009C 1E72BDA6
	v_mfma_f32_16x16x32_fp8_fp8 v[188:191], a[168:169], a[88:89], v[188:191]// 00000000CCD0: D3F300BC 1EF2B1A8
	v_mfma_f32_16x16x32_fp8_fp8 v[188:191], a[170:171], a[90:91], v[188:191]// 00000000CCD8: D3F300BC 1EF2B5AA
	v_mfma_f32_16x16x32_fp8_fp8 v[188:191], a[172:173], a[92:93], v[188:191]// 00000000CCE0: D3F300BC 1EF2B9AC
	ds_read_b128 a[56:59], v2 offset:3584                      // 00000000CCE8: DBFE0E00 38000002
	ds_read_b128 a[60:63], v2 offset:3648                      // 00000000CCF0: DBFE0E40 3C000002
	v_mfma_f32_16x16x32_fp8_fp8 v[188:191], a[174:175], a[94:95], v[188:191]// 00000000CCF8: D3F300BC 1EF2BDAE
	v_mfma_f32_16x16x32_fp8_fp8 v[160:163], a[160:161], a[96:97], v[160:163]// 00000000CD00: D3F300A0 1E82C1A0
	v_mfma_f32_16x16x32_fp8_fp8 v[160:163], a[162:163], a[98:99], v[160:163]// 00000000CD08: D3F300A0 1E82C5A2
	v_mfma_f32_16x16x32_fp8_fp8 v[160:163], a[164:165], a[100:101], v[160:163]// 00000000CD10: D3F300A0 1E82C9A4
	v_mfma_f32_16x16x32_fp8_fp8 v[160:163], a[166:167], a[102:103], v[160:163]// 00000000CD18: D3F300A0 1E82CDA6
	v_mfma_f32_16x16x32_fp8_fp8 v[192:195], a[168:169], a[96:97], v[192:195]// 00000000CD20: D3F300C0 1F02C1A8
	v_mfma_f32_16x16x32_fp8_fp8 v[192:195], a[170:171], a[98:99], v[192:195]// 00000000CD28: D3F300C0 1F02C5AA
	v_mfma_f32_16x16x32_fp8_fp8 v[192:195], a[172:173], a[100:101], v[192:195]// 00000000CD30: D3F300C0 1F02C9AC
	v_mfma_f32_16x16x32_fp8_fp8 v[192:195], a[174:175], a[102:103], v[192:195]// 00000000CD38: D3F300C0 1F02CDAE
	v_mfma_f32_16x16x32_fp8_fp8 v[164:167], a[160:161], a[104:105], v[164:167]// 00000000CD40: D3F300A4 1E92D1A0
	v_mfma_f32_16x16x32_fp8_fp8 v[164:167], a[162:163], a[106:107], v[164:167]// 00000000CD48: D3F300A4 1E92D5A2
	v_mfma_f32_16x16x32_fp8_fp8 v[164:167], a[164:165], a[108:109], v[164:167]// 00000000CD50: D3F300A4 1E92D9A4
	v_mfma_f32_16x16x32_fp8_fp8 v[164:167], a[166:167], a[110:111], v[164:167]// 00000000CD58: D3F300A4 1E92DDA6
	v_mfma_f32_16x16x32_fp8_fp8 v[196:199], a[168:169], a[104:105], v[196:199]// 00000000CD60: D3F300C4 1F12D1A8
	v_mfma_f32_16x16x32_fp8_fp8 v[196:199], a[170:171], a[106:107], v[196:199]// 00000000CD68: D3F300C4 1F12D5AA
	v_mfma_f32_16x16x32_fp8_fp8 v[196:199], a[172:173], a[108:109], v[196:199]// 00000000CD70: D3F300C4 1F12D9AC
	v_mfma_f32_16x16x32_fp8_fp8 v[196:199], a[174:175], a[110:111], v[196:199]// 00000000CD78: D3F300C4 1F12DDAE
	v_mfma_f32_16x16x32_fp8_fp8 v[168:171], a[160:161], a[112:113], v[168:171]// 00000000CD80: D3F300A8 1EA2E1A0
	v_mfma_f32_16x16x32_fp8_fp8 v[168:171], a[162:163], a[114:115], v[168:171]// 00000000CD88: D3F300A8 1EA2E5A2
	v_mfma_f32_16x16x32_fp8_fp8 v[168:171], a[164:165], a[116:117], v[168:171]// 00000000CD90: D3F300A8 1EA2E9A4
	v_mfma_f32_16x16x32_fp8_fp8 v[168:171], a[166:167], a[118:119], v[168:171]// 00000000CD98: D3F300A8 1EA2EDA6
	v_mfma_f32_16x16x32_fp8_fp8 v[200:203], a[168:169], a[112:113], v[200:203]// 00000000CDA0: D3F300C8 1F22E1A8
	v_mfma_f32_16x16x32_fp8_fp8 v[200:203], a[170:171], a[114:115], v[200:203]// 00000000CDA8: D3F300C8 1F22E5AA
	v_mfma_f32_16x16x32_fp8_fp8 v[200:203], a[172:173], a[116:117], v[200:203]// 00000000CDB0: D3F300C8 1F22E9AC
	v_mfma_f32_16x16x32_fp8_fp8 v[200:203], a[174:175], a[118:119], v[200:203]// 00000000CDB8: D3F300C8 1F22EDAE
	v_mfma_f32_16x16x32_fp8_fp8 v[172:175], a[160:161], a[120:121], v[172:175]// 00000000CDC0: D3F300AC 1EB2F1A0
	s_add_u32 s60, 0x180, s80                                  // 00000000CDC8: 803C50FF 00000180
	s_cmp_lt_u32 s60, s81                                      // 00000000CDD0: BF0A513C
	s_cselect_b32 s57, s57, 0                                  // 00000000CDD4: 85398039
	v_mfma_f32_16x16x32_fp8_fp8 v[172:175], a[162:163], a[122:123], v[172:175]// 00000000CDD8: D3F300AC 1EB2F5A2
	s_add_u32 s60, 0x100, s80                                  // 00000000CDE0: 803C50FF 00000100
	s_cmp_lt_u32 s60, s81                                      // 00000000CDE8: BF0A513C
	s_cselect_b32 s58, s58, 0                                  // 00000000CDEC: 853A803A
	v_mfma_f32_16x16x32_fp8_fp8 v[172:175], a[164:165], a[124:125], v[172:175]// 00000000CDF0: D3F300AC 1EB2F9A4
	s_add_u32 s60, 0x100, s80                                  // 00000000CDF8: 803C50FF 00000100
	s_cmp_lt_u32 s60, s81                                      // 00000000CE00: BF0A513C
	s_cselect_b32 s83, s83, 0                                  // 00000000CE04: 85538053
	v_mfma_f32_16x16x32_fp8_fp8 v[172:175], a[166:167], a[126:127], v[172:175]// 00000000CE08: D3F300AC 1EB2FDA6
	s_add_u32 s24, s58, s24                                    // 00000000CE10: 8018183A
	s_addc_u32 s25, 0, s25                                     // 00000000CE14: 82191980
	v_mfma_f32_16x16x32_fp8_fp8 v[204:207], a[168:169], a[120:121], v[204:207]// 00000000CE18: D3F300CC 1F32F1A8
	s_add_u32 s20, s57, s20                                    // 00000000CE20: 80141439
	s_addc_u32 s21, 0, s21                                     // 00000000CE24: 82151580
	v_mfma_f32_16x16x32_fp8_fp8 v[204:207], a[170:171], a[122:123], v[204:207]// 00000000CE28: D3F300CC 1F32F5AA
	s_add_u32 s84, s83, s84                                    // 00000000CE30: 80545453
	s_addc_u32 s85, 0, s85                                     // 00000000CE34: 82555580
	v_mfma_f32_16x16x32_fp8_fp8 v[204:207], a[172:173], a[124:125], v[204:207]// 00000000CE38: D3F300CC 1F32F9AC
	v_mfma_f32_16x16x32_fp8_fp8 v[204:207], a[174:175], a[126:127], v[204:207]// 00000000CE40: D3F300CC 1F32FDAE
	s_addk_i32 s80, 0x80                                       // 00000000CE48: B7500080
	s_cmp_lt_i32 s80, s81                                      // 00000000CE4C: BF045150
	s_cbranch_scc0 label_2919                                  // 00000000CE50: BF840001
	s_branch label_1FEE                                        // 00000000CE54: BF82F6D5

000000000000ce58 <label_2919>:
	v_mul_f32_dpp v80, v24, v80 row_newbcast:0 row_mask:0xf bank_mask:0xf// 00000000CE58: 0AA0A0FA FF015018
	v_mul_f32_dpp v81, v24, v81 row_newbcast:1 row_mask:0xf bank_mask:0xf// 00000000CE60: 0AA2A2FA FF015118
	v_mul_f32_dpp v82, v24, v82 row_newbcast:2 row_mask:0xf bank_mask:0xf// 00000000CE68: 0AA4A4FA FF015218
	v_mul_f32_dpp v83, v24, v83 row_newbcast:3 row_mask:0xf bank_mask:0xf// 00000000CE70: 0AA6A6FA FF015318
	v_mul_f32_dpp v84, v24, v84 row_newbcast:0 row_mask:0xf bank_mask:0xf// 00000000CE78: 0AA8A8FA FF015018
	v_mul_f32_dpp v85, v24, v85 row_newbcast:1 row_mask:0xf bank_mask:0xf// 00000000CE80: 0AAAAAFA FF015118
	v_mul_f32_dpp v86, v24, v86 row_newbcast:2 row_mask:0xf bank_mask:0xf// 00000000CE88: 0AACACFA FF015218
	v_mul_f32_dpp v87, v24, v87 row_newbcast:3 row_mask:0xf bank_mask:0xf// 00000000CE90: 0AAEAEFA FF015318
	v_mul_f32_dpp v88, v24, v88 row_newbcast:0 row_mask:0xf bank_mask:0xf// 00000000CE98: 0AB0B0FA FF015018
	v_mul_f32_dpp v89, v24, v89 row_newbcast:1 row_mask:0xf bank_mask:0xf// 00000000CEA0: 0AB2B2FA FF015118
	v_mul_f32_dpp v90, v24, v90 row_newbcast:2 row_mask:0xf bank_mask:0xf// 00000000CEA8: 0AB4B4FA FF015218
	v_mul_f32_dpp v91, v24, v91 row_newbcast:3 row_mask:0xf bank_mask:0xf// 00000000CEB0: 0AB6B6FA FF015318
	v_mul_f32_dpp v92, v24, v92 row_newbcast:0 row_mask:0xf bank_mask:0xf// 00000000CEB8: 0AB8B8FA FF015018
	v_mul_f32_dpp v93, v24, v93 row_newbcast:1 row_mask:0xf bank_mask:0xf// 00000000CEC0: 0ABABAFA FF015118
	v_mul_f32_dpp v94, v24, v94 row_newbcast:2 row_mask:0xf bank_mask:0xf// 00000000CEC8: 0ABCBCFA FF015218
	v_mul_f32_dpp v95, v24, v95 row_newbcast:3 row_mask:0xf bank_mask:0xf// 00000000CED0: 0ABEBEFA FF015318
	v_mul_f32_dpp v96, v24, v96 row_newbcast:0 row_mask:0xf bank_mask:0xf// 00000000CED8: 0AC0C0FA FF015018
	v_mul_f32_dpp v97, v24, v97 row_newbcast:1 row_mask:0xf bank_mask:0xf// 00000000CEE0: 0AC2C2FA FF015118
	v_mul_f32_dpp v98, v24, v98 row_newbcast:2 row_mask:0xf bank_mask:0xf// 00000000CEE8: 0AC4C4FA FF015218
	v_mul_f32_dpp v99, v24, v99 row_newbcast:3 row_mask:0xf bank_mask:0xf// 00000000CEF0: 0AC6C6FA FF015318
	v_mul_f32_dpp v100, v24, v100 row_newbcast:0 row_mask:0xf bank_mask:0xf// 00000000CEF8: 0AC8C8FA FF015018
	v_mul_f32_dpp v101, v24, v101 row_newbcast:1 row_mask:0xf bank_mask:0xf// 00000000CF00: 0ACACAFA FF015118
	v_mul_f32_dpp v102, v24, v102 row_newbcast:2 row_mask:0xf bank_mask:0xf// 00000000CF08: 0ACCCCFA FF015218
	v_mul_f32_dpp v103, v24, v103 row_newbcast:3 row_mask:0xf bank_mask:0xf// 00000000CF10: 0ACECEFA FF015318
	v_mul_f32_dpp v104, v24, v104 row_newbcast:0 row_mask:0xf bank_mask:0xf// 00000000CF18: 0AD0D0FA FF015018
	v_mul_f32_dpp v105, v24, v105 row_newbcast:1 row_mask:0xf bank_mask:0xf// 00000000CF20: 0AD2D2FA FF015118
	v_mul_f32_dpp v106, v24, v106 row_newbcast:2 row_mask:0xf bank_mask:0xf// 00000000CF28: 0AD4D4FA FF015218
	v_mul_f32_dpp v107, v24, v107 row_newbcast:3 row_mask:0xf bank_mask:0xf// 00000000CF30: 0AD6D6FA FF015318
	v_mul_f32_dpp v108, v24, v108 row_newbcast:0 row_mask:0xf bank_mask:0xf// 00000000CF38: 0AD8D8FA FF015018
	v_mul_f32_dpp v109, v24, v109 row_newbcast:1 row_mask:0xf bank_mask:0xf// 00000000CF40: 0ADADAFA FF015118
	v_mul_f32_dpp v110, v24, v110 row_newbcast:2 row_mask:0xf bank_mask:0xf// 00000000CF48: 0ADCDCFA FF015218
	v_mul_f32_dpp v111, v24, v111 row_newbcast:3 row_mask:0xf bank_mask:0xf// 00000000CF50: 0ADEDEFA FF015318
	v_mul_f32_dpp v112, v24, v112 row_newbcast:4 row_mask:0xf bank_mask:0xf// 00000000CF58: 0AE0E0FA FF015418
	v_mul_f32_dpp v113, v24, v113 row_newbcast:5 row_mask:0xf bank_mask:0xf// 00000000CF60: 0AE2E2FA FF015518
	v_mul_f32_dpp v114, v24, v114 row_newbcast:6 row_mask:0xf bank_mask:0xf// 00000000CF68: 0AE4E4FA FF015618
	v_mul_f32_dpp v115, v24, v115 row_newbcast:7 row_mask:0xf bank_mask:0xf// 00000000CF70: 0AE6E6FA FF015718
	v_mul_f32_dpp v116, v24, v116 row_newbcast:4 row_mask:0xf bank_mask:0xf// 00000000CF78: 0AE8E8FA FF015418
	v_mul_f32_dpp v117, v24, v117 row_newbcast:5 row_mask:0xf bank_mask:0xf// 00000000CF80: 0AEAEAFA FF015518
	v_mul_f32_dpp v118, v24, v118 row_newbcast:6 row_mask:0xf bank_mask:0xf// 00000000CF88: 0AECECFA FF015618
	v_mul_f32_dpp v119, v24, v119 row_newbcast:7 row_mask:0xf bank_mask:0xf// 00000000CF90: 0AEEEEFA FF015718
	v_mul_f32_dpp v120, v24, v120 row_newbcast:4 row_mask:0xf bank_mask:0xf// 00000000CF98: 0AF0F0FA FF015418
	v_mul_f32_dpp v121, v24, v121 row_newbcast:5 row_mask:0xf bank_mask:0xf// 00000000CFA0: 0AF2F2FA FF015518
	v_mul_f32_dpp v122, v24, v122 row_newbcast:6 row_mask:0xf bank_mask:0xf// 00000000CFA8: 0AF4F4FA FF015618
	v_mul_f32_dpp v123, v24, v123 row_newbcast:7 row_mask:0xf bank_mask:0xf// 00000000CFB0: 0AF6F6FA FF015718
	v_mul_f32_dpp v124, v24, v124 row_newbcast:4 row_mask:0xf bank_mask:0xf// 00000000CFB8: 0AF8F8FA FF015418
	v_mul_f32_dpp v125, v24, v125 row_newbcast:5 row_mask:0xf bank_mask:0xf// 00000000CFC0: 0AFAFAFA FF015518
	v_mul_f32_dpp v126, v24, v126 row_newbcast:6 row_mask:0xf bank_mask:0xf// 00000000CFC8: 0AFCFCFA FF015618
	v_mul_f32_dpp v127, v24, v127 row_newbcast:7 row_mask:0xf bank_mask:0xf// 00000000CFD0: 0AFEFEFA FF015718
	v_mul_f32_dpp v128, v24, v128 row_newbcast:4 row_mask:0xf bank_mask:0xf// 00000000CFD8: 0B0100FA FF015418
	v_mul_f32_dpp v129, v24, v129 row_newbcast:5 row_mask:0xf bank_mask:0xf// 00000000CFE0: 0B0302FA FF015518
	v_mul_f32_dpp v130, v24, v130 row_newbcast:6 row_mask:0xf bank_mask:0xf// 00000000CFE8: 0B0504FA FF015618
	v_mul_f32_dpp v131, v24, v131 row_newbcast:7 row_mask:0xf bank_mask:0xf// 00000000CFF0: 0B0706FA FF015718
	v_mul_f32_dpp v132, v24, v132 row_newbcast:4 row_mask:0xf bank_mask:0xf// 00000000CFF8: 0B0908FA FF015418
	v_mul_f32_dpp v133, v24, v133 row_newbcast:5 row_mask:0xf bank_mask:0xf// 00000000D000: 0B0B0AFA FF015518
	v_mul_f32_dpp v134, v24, v134 row_newbcast:6 row_mask:0xf bank_mask:0xf// 00000000D008: 0B0D0CFA FF015618
	v_mul_f32_dpp v135, v24, v135 row_newbcast:7 row_mask:0xf bank_mask:0xf// 00000000D010: 0B0F0EFA FF015718
	v_mul_f32_dpp v136, v24, v136 row_newbcast:4 row_mask:0xf bank_mask:0xf// 00000000D018: 0B1110FA FF015418
	v_mul_f32_dpp v137, v24, v137 row_newbcast:5 row_mask:0xf bank_mask:0xf// 00000000D020: 0B1312FA FF015518
	v_mul_f32_dpp v138, v24, v138 row_newbcast:6 row_mask:0xf bank_mask:0xf// 00000000D028: 0B1514FA FF015618
	v_mul_f32_dpp v139, v24, v139 row_newbcast:7 row_mask:0xf bank_mask:0xf// 00000000D030: 0B1716FA FF015718
	v_mul_f32_dpp v140, v24, v140 row_newbcast:4 row_mask:0xf bank_mask:0xf// 00000000D038: 0B1918FA FF015418
	v_mul_f32_dpp v141, v24, v141 row_newbcast:5 row_mask:0xf bank_mask:0xf// 00000000D040: 0B1B1AFA FF015518
	v_mul_f32_dpp v142, v24, v142 row_newbcast:6 row_mask:0xf bank_mask:0xf// 00000000D048: 0B1D1CFA FF015618
	v_mul_f32_dpp v143, v24, v143 row_newbcast:7 row_mask:0xf bank_mask:0xf// 00000000D050: 0B1F1EFA FF015718
	v_mul_f32_dpp v144, v27, v144 row_newbcast:0 row_mask:0xf bank_mask:0xf// 00000000D058: 0B2120FA FF01501B
	v_mul_f32_dpp v145, v27, v145 row_newbcast:1 row_mask:0xf bank_mask:0xf// 00000000D060: 0B2322FA FF01511B
	v_mul_f32_dpp v146, v27, v146 row_newbcast:2 row_mask:0xf bank_mask:0xf// 00000000D068: 0B2524FA FF01521B
	v_mul_f32_dpp v147, v27, v147 row_newbcast:3 row_mask:0xf bank_mask:0xf// 00000000D070: 0B2726FA FF01531B
	v_mul_f32_dpp v148, v27, v148 row_newbcast:0 row_mask:0xf bank_mask:0xf// 00000000D078: 0B2928FA FF01501B
	v_mul_f32_dpp v149, v27, v149 row_newbcast:1 row_mask:0xf bank_mask:0xf// 00000000D080: 0B2B2AFA FF01511B
	v_mul_f32_dpp v150, v27, v150 row_newbcast:2 row_mask:0xf bank_mask:0xf// 00000000D088: 0B2D2CFA FF01521B
	v_mul_f32_dpp v151, v27, v151 row_newbcast:3 row_mask:0xf bank_mask:0xf// 00000000D090: 0B2F2EFA FF01531B
	v_mul_f32_dpp v152, v27, v152 row_newbcast:0 row_mask:0xf bank_mask:0xf// 00000000D098: 0B3130FA FF01501B
	v_mul_f32_dpp v153, v27, v153 row_newbcast:1 row_mask:0xf bank_mask:0xf// 00000000D0A0: 0B3332FA FF01511B
	v_mul_f32_dpp v154, v27, v154 row_newbcast:2 row_mask:0xf bank_mask:0xf// 00000000D0A8: 0B3534FA FF01521B
	v_mul_f32_dpp v155, v27, v155 row_newbcast:3 row_mask:0xf bank_mask:0xf// 00000000D0B0: 0B3736FA FF01531B
	v_mul_f32_dpp v156, v27, v156 row_newbcast:0 row_mask:0xf bank_mask:0xf// 00000000D0B8: 0B3938FA FF01501B
	v_mul_f32_dpp v157, v27, v157 row_newbcast:1 row_mask:0xf bank_mask:0xf// 00000000D0C0: 0B3B3AFA FF01511B
	v_mul_f32_dpp v158, v27, v158 row_newbcast:2 row_mask:0xf bank_mask:0xf// 00000000D0C8: 0B3D3CFA FF01521B
	v_mul_f32_dpp v159, v27, v159 row_newbcast:3 row_mask:0xf bank_mask:0xf// 00000000D0D0: 0B3F3EFA FF01531B
	v_mul_f32_dpp v160, v27, v160 row_newbcast:0 row_mask:0xf bank_mask:0xf// 00000000D0D8: 0B4140FA FF01501B
	v_mul_f32_dpp v161, v27, v161 row_newbcast:1 row_mask:0xf bank_mask:0xf// 00000000D0E0: 0B4342FA FF01511B
	v_mul_f32_dpp v162, v27, v162 row_newbcast:2 row_mask:0xf bank_mask:0xf// 00000000D0E8: 0B4544FA FF01521B
	v_mul_f32_dpp v163, v27, v163 row_newbcast:3 row_mask:0xf bank_mask:0xf// 00000000D0F0: 0B4746FA FF01531B
	v_mul_f32_dpp v164, v27, v164 row_newbcast:0 row_mask:0xf bank_mask:0xf// 00000000D0F8: 0B4948FA FF01501B
	v_mul_f32_dpp v165, v27, v165 row_newbcast:1 row_mask:0xf bank_mask:0xf// 00000000D100: 0B4B4AFA FF01511B
	v_mul_f32_dpp v166, v27, v166 row_newbcast:2 row_mask:0xf bank_mask:0xf// 00000000D108: 0B4D4CFA FF01521B
	v_mul_f32_dpp v167, v27, v167 row_newbcast:3 row_mask:0xf bank_mask:0xf// 00000000D110: 0B4F4EFA FF01531B
	v_mul_f32_dpp v168, v27, v168 row_newbcast:0 row_mask:0xf bank_mask:0xf// 00000000D118: 0B5150FA FF01501B
	v_mul_f32_dpp v169, v27, v169 row_newbcast:1 row_mask:0xf bank_mask:0xf// 00000000D120: 0B5352FA FF01511B
	v_mul_f32_dpp v170, v27, v170 row_newbcast:2 row_mask:0xf bank_mask:0xf// 00000000D128: 0B5554FA FF01521B
	v_mul_f32_dpp v171, v27, v171 row_newbcast:3 row_mask:0xf bank_mask:0xf// 00000000D130: 0B5756FA FF01531B
	v_mul_f32_dpp v172, v27, v172 row_newbcast:0 row_mask:0xf bank_mask:0xf// 00000000D138: 0B5958FA FF01501B
	v_mul_f32_dpp v173, v27, v173 row_newbcast:1 row_mask:0xf bank_mask:0xf// 00000000D140: 0B5B5AFA FF01511B
	v_mul_f32_dpp v174, v27, v174 row_newbcast:2 row_mask:0xf bank_mask:0xf// 00000000D148: 0B5D5CFA FF01521B
	v_mul_f32_dpp v175, v27, v175 row_newbcast:3 row_mask:0xf bank_mask:0xf// 00000000D150: 0B5F5EFA FF01531B
	v_mul_f32_dpp v176, v27, v176 row_newbcast:4 row_mask:0xf bank_mask:0xf// 00000000D158: 0B6160FA FF01541B
	v_mul_f32_dpp v177, v27, v177 row_newbcast:5 row_mask:0xf bank_mask:0xf// 00000000D160: 0B6362FA FF01551B
	v_mul_f32_dpp v178, v27, v178 row_newbcast:6 row_mask:0xf bank_mask:0xf// 00000000D168: 0B6564FA FF01561B
	v_mul_f32_dpp v179, v27, v179 row_newbcast:7 row_mask:0xf bank_mask:0xf// 00000000D170: 0B6766FA FF01571B
	v_mul_f32_dpp v180, v27, v180 row_newbcast:4 row_mask:0xf bank_mask:0xf// 00000000D178: 0B6968FA FF01541B
	v_mul_f32_dpp v181, v27, v181 row_newbcast:5 row_mask:0xf bank_mask:0xf// 00000000D180: 0B6B6AFA FF01551B
	v_mul_f32_dpp v182, v27, v182 row_newbcast:6 row_mask:0xf bank_mask:0xf// 00000000D188: 0B6D6CFA FF01561B
	v_mul_f32_dpp v183, v27, v183 row_newbcast:7 row_mask:0xf bank_mask:0xf// 00000000D190: 0B6F6EFA FF01571B
	v_mul_f32_dpp v184, v27, v184 row_newbcast:4 row_mask:0xf bank_mask:0xf// 00000000D198: 0B7170FA FF01541B
	v_mul_f32_dpp v185, v27, v185 row_newbcast:5 row_mask:0xf bank_mask:0xf// 00000000D1A0: 0B7372FA FF01551B
	v_mul_f32_dpp v186, v27, v186 row_newbcast:6 row_mask:0xf bank_mask:0xf// 00000000D1A8: 0B7574FA FF01561B
	v_mul_f32_dpp v187, v27, v187 row_newbcast:7 row_mask:0xf bank_mask:0xf// 00000000D1B0: 0B7776FA FF01571B
	v_mul_f32_dpp v188, v27, v188 row_newbcast:4 row_mask:0xf bank_mask:0xf// 00000000D1B8: 0B7978FA FF01541B
	v_mul_f32_dpp v189, v27, v189 row_newbcast:5 row_mask:0xf bank_mask:0xf// 00000000D1C0: 0B7B7AFA FF01551B
	v_mul_f32_dpp v190, v27, v190 row_newbcast:6 row_mask:0xf bank_mask:0xf// 00000000D1C8: 0B7D7CFA FF01561B
	v_mul_f32_dpp v191, v27, v191 row_newbcast:7 row_mask:0xf bank_mask:0xf// 00000000D1D0: 0B7F7EFA FF01571B
	v_mul_f32_dpp v192, v27, v192 row_newbcast:4 row_mask:0xf bank_mask:0xf// 00000000D1D8: 0B8180FA FF01541B
	v_mul_f32_dpp v193, v27, v193 row_newbcast:5 row_mask:0xf bank_mask:0xf// 00000000D1E0: 0B8382FA FF01551B
	v_mul_f32_dpp v194, v27, v194 row_newbcast:6 row_mask:0xf bank_mask:0xf// 00000000D1E8: 0B8584FA FF01561B
	v_mul_f32_dpp v195, v27, v195 row_newbcast:7 row_mask:0xf bank_mask:0xf// 00000000D1F0: 0B8786FA FF01571B
	v_mul_f32_dpp v196, v27, v196 row_newbcast:4 row_mask:0xf bank_mask:0xf// 00000000D1F8: 0B8988FA FF01541B
	v_mul_f32_dpp v197, v27, v197 row_newbcast:5 row_mask:0xf bank_mask:0xf// 00000000D200: 0B8B8AFA FF01551B
	v_mul_f32_dpp v198, v27, v198 row_newbcast:6 row_mask:0xf bank_mask:0xf// 00000000D208: 0B8D8CFA FF01561B
	v_mul_f32_dpp v199, v27, v199 row_newbcast:7 row_mask:0xf bank_mask:0xf// 00000000D210: 0B8F8EFA FF01571B
	v_mul_f32_dpp v200, v27, v200 row_newbcast:4 row_mask:0xf bank_mask:0xf// 00000000D218: 0B9190FA FF01541B
	v_mul_f32_dpp v201, v27, v201 row_newbcast:5 row_mask:0xf bank_mask:0xf// 00000000D220: 0B9392FA FF01551B
	v_mul_f32_dpp v202, v27, v202 row_newbcast:6 row_mask:0xf bank_mask:0xf// 00000000D228: 0B9594FA FF01561B
	v_mul_f32_dpp v203, v27, v203 row_newbcast:7 row_mask:0xf bank_mask:0xf// 00000000D230: 0B9796FA FF01571B
	v_mul_f32_dpp v204, v27, v204 row_newbcast:4 row_mask:0xf bank_mask:0xf// 00000000D238: 0B9998FA FF01541B
	v_mul_f32_dpp v205, v27, v205 row_newbcast:5 row_mask:0xf bank_mask:0xf// 00000000D240: 0B9B9AFA FF01551B
	v_mul_f32_dpp v206, v27, v206 row_newbcast:6 row_mask:0xf bank_mask:0xf// 00000000D248: 0B9D9CFA FF01561B
	v_mul_f32_dpp v207, v27, v207 row_newbcast:7 row_mask:0xf bank_mask:0xf// 00000000D250: 0B9F9EFA FF01571B
	v_mul_f32_e32 v38, v38, v208                               // 00000000D258: 0A4DA126
	v_mov_b32_e32 v4, v38                                      // 00000000D25C: 7E080326
	v_mov_b32_e32 v5, v4                                       // 00000000D260: 7E0A0304
	v_pk_mul_f32 v[80:81], v[4:5], v[80:81]                    // 00000000D264: D3B14050 1802A104
	v_pk_mul_f32 v[144:145], v[4:5], v[144:145]                // 00000000D26C: D3B14090 18032104
	v_pk_mul_f32 v[82:83], v[4:5], v[82:83]                    // 00000000D274: D3B14052 1802A504
	v_pk_mul_f32 v[146:147], v[4:5], v[146:147]                // 00000000D27C: D3B14092 18032504
	v_pk_mul_f32 v[112:113], v[4:5], v[112:113]                // 00000000D284: D3B14070 1802E104
	v_pk_mul_f32 v[176:177], v[4:5], v[176:177]                // 00000000D28C: D3B140B0 18036104
	v_pk_mul_f32 v[114:115], v[4:5], v[114:115]                // 00000000D294: D3B14072 1802E504
	v_pk_mul_f32 v[178:179], v[4:5], v[178:179]                // 00000000D29C: D3B140B2 18036504
	v_mul_f32_e32 v39, v39, v209                               // 00000000D2A4: 0A4FA327
	v_mov_b32_e32 v4, v39                                      // 00000000D2A8: 7E080327
	v_mov_b32_e32 v5, v4                                       // 00000000D2AC: 7E0A0304
	v_pk_mul_f32 v[84:85], v[4:5], v[84:85]                    // 00000000D2B0: D3B14054 1802A904
	v_pk_mul_f32 v[148:149], v[4:5], v[148:149]                // 00000000D2B8: D3B14094 18032904
	v_pk_mul_f32 v[86:87], v[4:5], v[86:87]                    // 00000000D2C0: D3B14056 1802AD04
	v_pk_mul_f32 v[150:151], v[4:5], v[150:151]                // 00000000D2C8: D3B14096 18032D04
	v_pk_mul_f32 v[116:117], v[4:5], v[116:117]                // 00000000D2D0: D3B14074 1802E904
	v_pk_mul_f32 v[180:181], v[4:5], v[180:181]                // 00000000D2D8: D3B140B4 18036904
	v_pk_mul_f32 v[118:119], v[4:5], v[118:119]                // 00000000D2E0: D3B14076 1802ED04
	v_pk_mul_f32 v[182:183], v[4:5], v[182:183]                // 00000000D2E8: D3B140B6 18036D04
	v_mul_f32_e32 v40, v40, v210                               // 00000000D2F0: 0A51A528
	v_mov_b32_e32 v4, v40                                      // 00000000D2F4: 7E080328
	v_mov_b32_e32 v5, v4                                       // 00000000D2F8: 7E0A0304
	v_pk_mul_f32 v[88:89], v[4:5], v[88:89]                    // 00000000D2FC: D3B14058 1802B104
	v_pk_mul_f32 v[152:153], v[4:5], v[152:153]                // 00000000D304: D3B14098 18033104
	v_pk_mul_f32 v[90:91], v[4:5], v[90:91]                    // 00000000D30C: D3B1405A 1802B504
	v_pk_mul_f32 v[154:155], v[4:5], v[154:155]                // 00000000D314: D3B1409A 18033504
	v_pk_mul_f32 v[120:121], v[4:5], v[120:121]                // 00000000D31C: D3B14078 1802F104
	v_pk_mul_f32 v[184:185], v[4:5], v[184:185]                // 00000000D324: D3B140B8 18037104
	v_pk_mul_f32 v[122:123], v[4:5], v[122:123]                // 00000000D32C: D3B1407A 1802F504
	v_pk_mul_f32 v[186:187], v[4:5], v[186:187]                // 00000000D334: D3B140BA 18037504
	v_mul_f32_e32 v41, v41, v211                               // 00000000D33C: 0A53A729
	v_mov_b32_e32 v4, v41                                      // 00000000D340: 7E080329
	v_mov_b32_e32 v5, v4                                       // 00000000D344: 7E0A0304
	v_pk_mul_f32 v[92:93], v[4:5], v[92:93]                    // 00000000D348: D3B1405C 1802B904
	v_pk_mul_f32 v[156:157], v[4:5], v[156:157]                // 00000000D350: D3B1409C 18033904
	v_pk_mul_f32 v[94:95], v[4:5], v[94:95]                    // 00000000D358: D3B1405E 1802BD04
	v_pk_mul_f32 v[158:159], v[4:5], v[158:159]                // 00000000D360: D3B1409E 18033D04
	v_pk_mul_f32 v[124:125], v[4:5], v[124:125]                // 00000000D368: D3B1407C 1802F904
	v_pk_mul_f32 v[188:189], v[4:5], v[188:189]                // 00000000D370: D3B140BC 18037904
	v_pk_mul_f32 v[126:127], v[4:5], v[126:127]                // 00000000D378: D3B1407E 1802FD04
	v_pk_mul_f32 v[190:191], v[4:5], v[190:191]                // 00000000D380: D3B140BE 18037D04
	v_mul_f32_e32 v42, v42, v212                               // 00000000D388: 0A55A92A
	v_mov_b32_e32 v4, v42                                      // 00000000D38C: 7E08032A
	v_mov_b32_e32 v5, v4                                       // 00000000D390: 7E0A0304
	v_pk_mul_f32 v[96:97], v[4:5], v[96:97]                    // 00000000D394: D3B14060 1802C104
	v_pk_mul_f32 v[160:161], v[4:5], v[160:161]                // 00000000D39C: D3B140A0 18034104
	v_pk_mul_f32 v[98:99], v[4:5], v[98:99]                    // 00000000D3A4: D3B14062 1802C504
	v_pk_mul_f32 v[162:163], v[4:5], v[162:163]                // 00000000D3AC: D3B140A2 18034504
	v_pk_mul_f32 v[128:129], v[4:5], v[128:129]                // 00000000D3B4: D3B14080 18030104
	v_pk_mul_f32 v[192:193], v[4:5], v[192:193]                // 00000000D3BC: D3B140C0 18038104
	v_pk_mul_f32 v[130:131], v[4:5], v[130:131]                // 00000000D3C4: D3B14082 18030504
	v_pk_mul_f32 v[194:195], v[4:5], v[194:195]                // 00000000D3CC: D3B140C2 18038504
	v_mul_f32_e32 v43, v43, v213                               // 00000000D3D4: 0A57AB2B
	v_mov_b32_e32 v4, v43                                      // 00000000D3D8: 7E08032B
	v_mov_b32_e32 v5, v4                                       // 00000000D3DC: 7E0A0304
	v_pk_mul_f32 v[100:101], v[4:5], v[100:101]                // 00000000D3E0: D3B14064 1802C904
	v_pk_mul_f32 v[164:165], v[4:5], v[164:165]                // 00000000D3E8: D3B140A4 18034904
	v_pk_mul_f32 v[102:103], v[4:5], v[102:103]                // 00000000D3F0: D3B14066 1802CD04
	v_pk_mul_f32 v[166:167], v[4:5], v[166:167]                // 00000000D3F8: D3B140A6 18034D04
	v_pk_mul_f32 v[132:133], v[4:5], v[132:133]                // 00000000D400: D3B14084 18030904
	v_pk_mul_f32 v[196:197], v[4:5], v[196:197]                // 00000000D408: D3B140C4 18038904
	v_pk_mul_f32 v[134:135], v[4:5], v[134:135]                // 00000000D410: D3B14086 18030D04
	v_pk_mul_f32 v[198:199], v[4:5], v[198:199]                // 00000000D418: D3B140C6 18038D04
	v_mul_f32_e32 v44, v44, v214                               // 00000000D420: 0A59AD2C
	v_mov_b32_e32 v4, v44                                      // 00000000D424: 7E08032C
	v_mov_b32_e32 v5, v4                                       // 00000000D428: 7E0A0304
	v_pk_mul_f32 v[104:105], v[4:5], v[104:105]                // 00000000D42C: D3B14068 1802D104
	v_pk_mul_f32 v[168:169], v[4:5], v[168:169]                // 00000000D434: D3B140A8 18035104
	v_pk_mul_f32 v[106:107], v[4:5], v[106:107]                // 00000000D43C: D3B1406A 1802D504
	v_pk_mul_f32 v[170:171], v[4:5], v[170:171]                // 00000000D444: D3B140AA 18035504
	v_pk_mul_f32 v[136:137], v[4:5], v[136:137]                // 00000000D44C: D3B14088 18031104
	v_pk_mul_f32 v[200:201], v[4:5], v[200:201]                // 00000000D454: D3B140C8 18039104
	v_pk_mul_f32 v[138:139], v[4:5], v[138:139]                // 00000000D45C: D3B1408A 18031504
	v_pk_mul_f32 v[202:203], v[4:5], v[202:203]                // 00000000D464: D3B140CA 18039504
	v_mul_f32_e32 v45, v45, v215                               // 00000000D46C: 0A5BAF2D
	v_mov_b32_e32 v4, v45                                      // 00000000D470: 7E08032D
	v_mov_b32_e32 v5, v4                                       // 00000000D474: 7E0A0304
	v_pk_mul_f32 v[108:109], v[4:5], v[108:109]                // 00000000D478: D3B1406C 1802D904
	v_pk_mul_f32 v[172:173], v[4:5], v[172:173]                // 00000000D480: D3B140AC 18035904
	v_pk_mul_f32 v[110:111], v[4:5], v[110:111]                // 00000000D488: D3B1406E 1802DD04
	v_pk_mul_f32 v[174:175], v[4:5], v[174:175]                // 00000000D490: D3B140AE 18035D04
	v_pk_mul_f32 v[140:141], v[4:5], v[140:141]                // 00000000D498: D3B1408C 18031904
	v_pk_mul_f32 v[204:205], v[4:5], v[204:205]                // 00000000D4A0: D3B140CC 18039904
	v_pk_mul_f32 v[142:143], v[4:5], v[142:143]                // 00000000D4A8: D3B1408E 18031D04
	v_pk_mul_f32 v[206:207], v[4:5], v[206:207]                // 00000000D4B0: D3B140CE 18039D04
	s_cmp_eq_u32 s88, 0                                        // 00000000D4B8: BF068058
	s_cbranch_scc0 label_3414                                  // 00000000D4BC: BF840961
	s_cmp_eq_u32 s89, 0                                        // 00000000D4C0: BF068059
	s_cbranch_scc1 label_2D3A                                  // 00000000D4C4: BF850285
	v_mov_b32_e32 v8, v1                                       // 00000000D4C8: 7E100301
	v_mov_b32_e32 v9, v1                                       // 00000000D4CC: 7E120301
	s_mov_b32 s60, s6                                          // 00000000D4D0: BEBC0006
	s_mov_b32 s61, s6                                          // 00000000D4D4: BEBD0006
	v_pk_mul_f32 v[4:5], v[80:81], v[80:81]                    // 00000000D4D8: D3B14004 1802A150
	v_pk_mul_f32 v[6:7], v[82:83], v[82:83]                    // 00000000D4E0: D3B14006 1802A552
	v_pk_fma_f32 v[4:5], v[4:5], s[78:79], v[8:9]              // 00000000D4E8: D3B04004 1C209D04
	v_pk_fma_f32 v[6:7], v[6:7], s[78:79], v[8:9]              // 00000000D4F0: D3B04006 1C209D06
	v_pk_mul_f32 v[4:5], v[4:5], v[80:81]                      // 00000000D4F8: D3B14004 1802A104
	v_pk_mul_f32 v[6:7], v[6:7], v[82:83]                      // 00000000D500: D3B14006 1802A506
	v_pk_mul_f32 v[4:5], v[4:5], s[60:61]                      // 00000000D508: D3B14004 18007904
	v_pk_mul_f32 v[6:7], v[6:7], s[60:61]                      // 00000000D510: D3B14006 18007906
	v_exp_f32_e32 v4, v4                                       // 00000000D518: 7E084104
	v_exp_f32_e32 v5, v5                                       // 00000000D51C: 7E0A4105
	v_exp_f32_e32 v6, v6                                       // 00000000D520: 7E0C4106
	v_exp_f32_e32 v7, v7                                       // 00000000D524: 7E0E4107
	v_add_f32_e64 v4, v4, 1.0                                  // 00000000D528: D1010004 0001E504
	v_add_f32_e64 v5, v5, 1.0                                  // 00000000D530: D1010005 0001E505
	v_add_f32_e64 v6, v6, 1.0                                  // 00000000D538: D1010006 0001E506
	v_add_f32_e64 v7, v7, 1.0                                  // 00000000D540: D1010007 0001E507
	v_rcp_f32_e32 v4, v4                                       // 00000000D548: 7E084504
	v_rcp_f32_e32 v5, v5                                       // 00000000D54C: 7E0A4505
	v_rcp_f32_e32 v6, v6                                       // 00000000D550: 7E0C4506
	v_rcp_f32_e32 v7, v7                                       // 00000000D554: 7E0E4507
	v_mul_f32_e32 v80, v80, v4                                 // 00000000D558: 0AA00950
	v_mul_f32_e32 v81, v81, v5                                 // 00000000D55C: 0AA20B51
	v_mul_f32_e32 v82, v82, v6                                 // 00000000D560: 0AA40D52
	v_mul_f32_e32 v83, v83, v7                                 // 00000000D564: 0AA60F53
	v_mul_f32_e32 v80, v80, v144                               // 00000000D568: 0AA12150
	v_mul_f32_e32 v81, v81, v145                               // 00000000D56C: 0AA32351
	v_mul_f32_e32 v82, v82, v146                               // 00000000D570: 0AA52552
	v_mul_f32_e32 v83, v83, v147                               // 00000000D574: 0AA72753
	v_pk_mul_f32 v[4:5], v[84:85], v[84:85]                    // 00000000D578: D3B14004 1802A954
	v_pk_mul_f32 v[6:7], v[86:87], v[86:87]                    // 00000000D580: D3B14006 1802AD56
	v_pk_fma_f32 v[4:5], v[4:5], s[78:79], v[8:9]              // 00000000D588: D3B04004 1C209D04
	v_pk_fma_f32 v[6:7], v[6:7], s[78:79], v[8:9]              // 00000000D590: D3B04006 1C209D06
	v_pk_mul_f32 v[4:5], v[4:5], v[84:85]                      // 00000000D598: D3B14004 1802A904
	v_pk_mul_f32 v[6:7], v[6:7], v[86:87]                      // 00000000D5A0: D3B14006 1802AD06
	v_pk_mul_f32 v[4:5], v[4:5], s[60:61]                      // 00000000D5A8: D3B14004 18007904
	v_pk_mul_f32 v[6:7], v[6:7], s[60:61]                      // 00000000D5B0: D3B14006 18007906
	v_exp_f32_e32 v4, v4                                       // 00000000D5B8: 7E084104
	v_exp_f32_e32 v5, v5                                       // 00000000D5BC: 7E0A4105
	v_exp_f32_e32 v6, v6                                       // 00000000D5C0: 7E0C4106
	v_exp_f32_e32 v7, v7                                       // 00000000D5C4: 7E0E4107
	v_add_f32_e64 v4, v4, 1.0                                  // 00000000D5C8: D1010004 0001E504
	v_add_f32_e64 v5, v5, 1.0                                  // 00000000D5D0: D1010005 0001E505
	v_add_f32_e64 v6, v6, 1.0                                  // 00000000D5D8: D1010006 0001E506
	v_add_f32_e64 v7, v7, 1.0                                  // 00000000D5E0: D1010007 0001E507
	v_rcp_f32_e32 v4, v4                                       // 00000000D5E8: 7E084504
	v_rcp_f32_e32 v5, v5                                       // 00000000D5EC: 7E0A4505
	v_rcp_f32_e32 v6, v6                                       // 00000000D5F0: 7E0C4506
	v_rcp_f32_e32 v7, v7                                       // 00000000D5F4: 7E0E4507
	v_mul_f32_e32 v84, v84, v4                                 // 00000000D5F8: 0AA80954
	v_mul_f32_e32 v85, v85, v5                                 // 00000000D5FC: 0AAA0B55
	v_mul_f32_e32 v86, v86, v6                                 // 00000000D600: 0AAC0D56
	v_mul_f32_e32 v87, v87, v7                                 // 00000000D604: 0AAE0F57
	v_mul_f32_e32 v84, v84, v148                               // 00000000D608: 0AA92954
	v_mul_f32_e32 v85, v85, v149                               // 00000000D60C: 0AAB2B55
	v_mul_f32_e32 v86, v86, v150                               // 00000000D610: 0AAD2D56
	v_mul_f32_e32 v87, v87, v151                               // 00000000D614: 0AAF2F57
	v_pk_mul_f32 v[4:5], v[88:89], v[88:89]                    // 00000000D618: D3B14004 1802B158
	v_pk_mul_f32 v[6:7], v[90:91], v[90:91]                    // 00000000D620: D3B14006 1802B55A
	v_pk_fma_f32 v[4:5], v[4:5], s[78:79], v[8:9]              // 00000000D628: D3B04004 1C209D04
	v_pk_fma_f32 v[6:7], v[6:7], s[78:79], v[8:9]              // 00000000D630: D3B04006 1C209D06
	v_pk_mul_f32 v[4:5], v[4:5], v[88:89]                      // 00000000D638: D3B14004 1802B104
	v_pk_mul_f32 v[6:7], v[6:7], v[90:91]                      // 00000000D640: D3B14006 1802B506
	v_pk_mul_f32 v[4:5], v[4:5], s[60:61]                      // 00000000D648: D3B14004 18007904
	v_pk_mul_f32 v[6:7], v[6:7], s[60:61]                      // 00000000D650: D3B14006 18007906
	v_exp_f32_e32 v4, v4                                       // 00000000D658: 7E084104
	v_exp_f32_e32 v5, v5                                       // 00000000D65C: 7E0A4105
	v_exp_f32_e32 v6, v6                                       // 00000000D660: 7E0C4106
	v_exp_f32_e32 v7, v7                                       // 00000000D664: 7E0E4107
	v_add_f32_e64 v4, v4, 1.0                                  // 00000000D668: D1010004 0001E504
	v_add_f32_e64 v5, v5, 1.0                                  // 00000000D670: D1010005 0001E505
	v_add_f32_e64 v6, v6, 1.0                                  // 00000000D678: D1010006 0001E506
	v_add_f32_e64 v7, v7, 1.0                                  // 00000000D680: D1010007 0001E507
	v_rcp_f32_e32 v4, v4                                       // 00000000D688: 7E084504
	v_rcp_f32_e32 v5, v5                                       // 00000000D68C: 7E0A4505
	v_rcp_f32_e32 v6, v6                                       // 00000000D690: 7E0C4506
	v_rcp_f32_e32 v7, v7                                       // 00000000D694: 7E0E4507
	v_mul_f32_e32 v88, v88, v4                                 // 00000000D698: 0AB00958
	v_mul_f32_e32 v89, v89, v5                                 // 00000000D69C: 0AB20B59
	v_mul_f32_e32 v90, v90, v6                                 // 00000000D6A0: 0AB40D5A
	v_mul_f32_e32 v91, v91, v7                                 // 00000000D6A4: 0AB60F5B
	v_mul_f32_e32 v88, v88, v152                               // 00000000D6A8: 0AB13158
	v_mul_f32_e32 v89, v89, v153                               // 00000000D6AC: 0AB33359
	v_mul_f32_e32 v90, v90, v154                               // 00000000D6B0: 0AB5355A
	v_mul_f32_e32 v91, v91, v155                               // 00000000D6B4: 0AB7375B
	v_pk_mul_f32 v[4:5], v[92:93], v[92:93]                    // 00000000D6B8: D3B14004 1802B95C
	v_pk_mul_f32 v[6:7], v[94:95], v[94:95]                    // 00000000D6C0: D3B14006 1802BD5E
	v_pk_fma_f32 v[4:5], v[4:5], s[78:79], v[8:9]              // 00000000D6C8: D3B04004 1C209D04
	v_pk_fma_f32 v[6:7], v[6:7], s[78:79], v[8:9]              // 00000000D6D0: D3B04006 1C209D06
	v_pk_mul_f32 v[4:5], v[4:5], v[92:93]                      // 00000000D6D8: D3B14004 1802B904
	v_pk_mul_f32 v[6:7], v[6:7], v[94:95]                      // 00000000D6E0: D3B14006 1802BD06
	v_pk_mul_f32 v[4:5], v[4:5], s[60:61]                      // 00000000D6E8: D3B14004 18007904
	v_pk_mul_f32 v[6:7], v[6:7], s[60:61]                      // 00000000D6F0: D3B14006 18007906
	v_exp_f32_e32 v4, v4                                       // 00000000D6F8: 7E084104
	v_exp_f32_e32 v5, v5                                       // 00000000D6FC: 7E0A4105
	v_exp_f32_e32 v6, v6                                       // 00000000D700: 7E0C4106
	v_exp_f32_e32 v7, v7                                       // 00000000D704: 7E0E4107
	v_add_f32_e64 v4, v4, 1.0                                  // 00000000D708: D1010004 0001E504
	v_add_f32_e64 v5, v5, 1.0                                  // 00000000D710: D1010005 0001E505
	v_add_f32_e64 v6, v6, 1.0                                  // 00000000D718: D1010006 0001E506
	v_add_f32_e64 v7, v7, 1.0                                  // 00000000D720: D1010007 0001E507
	v_rcp_f32_e32 v4, v4                                       // 00000000D728: 7E084504
	v_rcp_f32_e32 v5, v5                                       // 00000000D72C: 7E0A4505
	v_rcp_f32_e32 v6, v6                                       // 00000000D730: 7E0C4506
	v_rcp_f32_e32 v7, v7                                       // 00000000D734: 7E0E4507
	v_mul_f32_e32 v92, v92, v4                                 // 00000000D738: 0AB8095C
	v_mul_f32_e32 v93, v93, v5                                 // 00000000D73C: 0ABA0B5D
	v_mul_f32_e32 v94, v94, v6                                 // 00000000D740: 0ABC0D5E
	v_mul_f32_e32 v95, v95, v7                                 // 00000000D744: 0ABE0F5F
	v_mul_f32_e32 v92, v92, v156                               // 00000000D748: 0AB9395C
	v_mul_f32_e32 v93, v93, v157                               // 00000000D74C: 0ABB3B5D
	v_mul_f32_e32 v94, v94, v158                               // 00000000D750: 0ABD3D5E
	v_mul_f32_e32 v95, v95, v159                               // 00000000D754: 0ABF3F5F
	v_pk_mul_f32 v[4:5], v[96:97], v[96:97]                    // 00000000D758: D3B14004 1802C160
	v_pk_mul_f32 v[6:7], v[98:99], v[98:99]                    // 00000000D760: D3B14006 1802C562
	v_pk_fma_f32 v[4:5], v[4:5], s[78:79], v[8:9]              // 00000000D768: D3B04004 1C209D04
	v_pk_fma_f32 v[6:7], v[6:7], s[78:79], v[8:9]              // 00000000D770: D3B04006 1C209D06
	v_pk_mul_f32 v[4:5], v[4:5], v[96:97]                      // 00000000D778: D3B14004 1802C104
	v_pk_mul_f32 v[6:7], v[6:7], v[98:99]                      // 00000000D780: D3B14006 1802C506
	v_pk_mul_f32 v[4:5], v[4:5], s[60:61]                      // 00000000D788: D3B14004 18007904
	v_pk_mul_f32 v[6:7], v[6:7], s[60:61]                      // 00000000D790: D3B14006 18007906
	v_exp_f32_e32 v4, v4                                       // 00000000D798: 7E084104
	v_exp_f32_e32 v5, v5                                       // 00000000D79C: 7E0A4105
	v_exp_f32_e32 v6, v6                                       // 00000000D7A0: 7E0C4106
	v_exp_f32_e32 v7, v7                                       // 00000000D7A4: 7E0E4107
	v_add_f32_e64 v4, v4, 1.0                                  // 00000000D7A8: D1010004 0001E504
	v_add_f32_e64 v5, v5, 1.0                                  // 00000000D7B0: D1010005 0001E505
	v_add_f32_e64 v6, v6, 1.0                                  // 00000000D7B8: D1010006 0001E506
	v_add_f32_e64 v7, v7, 1.0                                  // 00000000D7C0: D1010007 0001E507
	v_rcp_f32_e32 v4, v4                                       // 00000000D7C8: 7E084504
	v_rcp_f32_e32 v5, v5                                       // 00000000D7CC: 7E0A4505
	v_rcp_f32_e32 v6, v6                                       // 00000000D7D0: 7E0C4506
	v_rcp_f32_e32 v7, v7                                       // 00000000D7D4: 7E0E4507
	v_mul_f32_e32 v96, v96, v4                                 // 00000000D7D8: 0AC00960
	v_mul_f32_e32 v97, v97, v5                                 // 00000000D7DC: 0AC20B61
	v_mul_f32_e32 v98, v98, v6                                 // 00000000D7E0: 0AC40D62
	v_mul_f32_e32 v99, v99, v7                                 // 00000000D7E4: 0AC60F63
	v_mul_f32_e32 v96, v96, v160                               // 00000000D7E8: 0AC14160
	v_mul_f32_e32 v97, v97, v161                               // 00000000D7EC: 0AC34361
	v_mul_f32_e32 v98, v98, v162                               // 00000000D7F0: 0AC54562
	v_mul_f32_e32 v99, v99, v163                               // 00000000D7F4: 0AC74763
	v_pk_mul_f32 v[4:5], v[100:101], v[100:101]                // 00000000D7F8: D3B14004 1802C964
	v_pk_mul_f32 v[6:7], v[102:103], v[102:103]                // 00000000D800: D3B14006 1802CD66
	v_pk_fma_f32 v[4:5], v[4:5], s[78:79], v[8:9]              // 00000000D808: D3B04004 1C209D04
	v_pk_fma_f32 v[6:7], v[6:7], s[78:79], v[8:9]              // 00000000D810: D3B04006 1C209D06
	v_pk_mul_f32 v[4:5], v[4:5], v[100:101]                    // 00000000D818: D3B14004 1802C904
	v_pk_mul_f32 v[6:7], v[6:7], v[102:103]                    // 00000000D820: D3B14006 1802CD06
	v_pk_mul_f32 v[4:5], v[4:5], s[60:61]                      // 00000000D828: D3B14004 18007904
	v_pk_mul_f32 v[6:7], v[6:7], s[60:61]                      // 00000000D830: D3B14006 18007906
	v_exp_f32_e32 v4, v4                                       // 00000000D838: 7E084104
	v_exp_f32_e32 v5, v5                                       // 00000000D83C: 7E0A4105
	v_exp_f32_e32 v6, v6                                       // 00000000D840: 7E0C4106
	v_exp_f32_e32 v7, v7                                       // 00000000D844: 7E0E4107
	v_add_f32_e64 v4, v4, 1.0                                  // 00000000D848: D1010004 0001E504
	v_add_f32_e64 v5, v5, 1.0                                  // 00000000D850: D1010005 0001E505
	v_add_f32_e64 v6, v6, 1.0                                  // 00000000D858: D1010006 0001E506
	v_add_f32_e64 v7, v7, 1.0                                  // 00000000D860: D1010007 0001E507
	v_rcp_f32_e32 v4, v4                                       // 00000000D868: 7E084504
	v_rcp_f32_e32 v5, v5                                       // 00000000D86C: 7E0A4505
	v_rcp_f32_e32 v6, v6                                       // 00000000D870: 7E0C4506
	v_rcp_f32_e32 v7, v7                                       // 00000000D874: 7E0E4507
	v_mul_f32_e32 v100, v100, v4                               // 00000000D878: 0AC80964
	v_mul_f32_e32 v101, v101, v5                               // 00000000D87C: 0ACA0B65
	v_mul_f32_e32 v102, v102, v6                               // 00000000D880: 0ACC0D66
	v_mul_f32_e32 v103, v103, v7                               // 00000000D884: 0ACE0F67
	v_mul_f32_e32 v100, v100, v164                             // 00000000D888: 0AC94964
	v_mul_f32_e32 v101, v101, v165                             // 00000000D88C: 0ACB4B65
	v_mul_f32_e32 v102, v102, v166                             // 00000000D890: 0ACD4D66
	v_mul_f32_e32 v103, v103, v167                             // 00000000D894: 0ACF4F67
	v_pk_mul_f32 v[4:5], v[104:105], v[104:105]                // 00000000D898: D3B14004 1802D168
	v_pk_mul_f32 v[6:7], v[106:107], v[106:107]                // 00000000D8A0: D3B14006 1802D56A
	v_pk_fma_f32 v[4:5], v[4:5], s[78:79], v[8:9]              // 00000000D8A8: D3B04004 1C209D04
	v_pk_fma_f32 v[6:7], v[6:7], s[78:79], v[8:9]              // 00000000D8B0: D3B04006 1C209D06
	v_pk_mul_f32 v[4:5], v[4:5], v[104:105]                    // 00000000D8B8: D3B14004 1802D104
	v_pk_mul_f32 v[6:7], v[6:7], v[106:107]                    // 00000000D8C0: D3B14006 1802D506
	v_pk_mul_f32 v[4:5], v[4:5], s[60:61]                      // 00000000D8C8: D3B14004 18007904
	v_pk_mul_f32 v[6:7], v[6:7], s[60:61]                      // 00000000D8D0: D3B14006 18007906
	v_exp_f32_e32 v4, v4                                       // 00000000D8D8: 7E084104
	v_exp_f32_e32 v5, v5                                       // 00000000D8DC: 7E0A4105
	v_exp_f32_e32 v6, v6                                       // 00000000D8E0: 7E0C4106
	v_exp_f32_e32 v7, v7                                       // 00000000D8E4: 7E0E4107
	v_add_f32_e64 v4, v4, 1.0                                  // 00000000D8E8: D1010004 0001E504
	v_add_f32_e64 v5, v5, 1.0                                  // 00000000D8F0: D1010005 0001E505
	v_add_f32_e64 v6, v6, 1.0                                  // 00000000D8F8: D1010006 0001E506
	v_add_f32_e64 v7, v7, 1.0                                  // 00000000D900: D1010007 0001E507
	v_rcp_f32_e32 v4, v4                                       // 00000000D908: 7E084504
	v_rcp_f32_e32 v5, v5                                       // 00000000D90C: 7E0A4505
	v_rcp_f32_e32 v6, v6                                       // 00000000D910: 7E0C4506
	v_rcp_f32_e32 v7, v7                                       // 00000000D914: 7E0E4507
	v_mul_f32_e32 v104, v104, v4                               // 00000000D918: 0AD00968
	v_mul_f32_e32 v105, v105, v5                               // 00000000D91C: 0AD20B69
	v_mul_f32_e32 v106, v106, v6                               // 00000000D920: 0AD40D6A
	v_mul_f32_e32 v107, v107, v7                               // 00000000D924: 0AD60F6B
	v_mul_f32_e32 v104, v104, v168                             // 00000000D928: 0AD15168
	v_mul_f32_e32 v105, v105, v169                             // 00000000D92C: 0AD35369
	v_mul_f32_e32 v106, v106, v170                             // 00000000D930: 0AD5556A
	v_mul_f32_e32 v107, v107, v171                             // 00000000D934: 0AD7576B
	v_pk_mul_f32 v[4:5], v[108:109], v[108:109]                // 00000000D938: D3B14004 1802D96C
	v_pk_mul_f32 v[6:7], v[110:111], v[110:111]                // 00000000D940: D3B14006 1802DD6E
	v_pk_fma_f32 v[4:5], v[4:5], s[78:79], v[8:9]              // 00000000D948: D3B04004 1C209D04
	v_pk_fma_f32 v[6:7], v[6:7], s[78:79], v[8:9]              // 00000000D950: D3B04006 1C209D06
	v_pk_mul_f32 v[4:5], v[4:5], v[108:109]                    // 00000000D958: D3B14004 1802D904
	v_pk_mul_f32 v[6:7], v[6:7], v[110:111]                    // 00000000D960: D3B14006 1802DD06
	v_pk_mul_f32 v[4:5], v[4:5], s[60:61]                      // 00000000D968: D3B14004 18007904
	v_pk_mul_f32 v[6:7], v[6:7], s[60:61]                      // 00000000D970: D3B14006 18007906
	v_exp_f32_e32 v4, v4                                       // 00000000D978: 7E084104
	v_exp_f32_e32 v5, v5                                       // 00000000D97C: 7E0A4105
	v_exp_f32_e32 v6, v6                                       // 00000000D980: 7E0C4106
	v_exp_f32_e32 v7, v7                                       // 00000000D984: 7E0E4107
	v_add_f32_e64 v4, v4, 1.0                                  // 00000000D988: D1010004 0001E504
	v_add_f32_e64 v5, v5, 1.0                                  // 00000000D990: D1010005 0001E505
	v_add_f32_e64 v6, v6, 1.0                                  // 00000000D998: D1010006 0001E506
	v_add_f32_e64 v7, v7, 1.0                                  // 00000000D9A0: D1010007 0001E507
	v_rcp_f32_e32 v4, v4                                       // 00000000D9A8: 7E084504
	v_rcp_f32_e32 v5, v5                                       // 00000000D9AC: 7E0A4505
	v_rcp_f32_e32 v6, v6                                       // 00000000D9B0: 7E0C4506
	v_rcp_f32_e32 v7, v7                                       // 00000000D9B4: 7E0E4507
	v_mul_f32_e32 v108, v108, v4                               // 00000000D9B8: 0AD8096C
	v_mul_f32_e32 v109, v109, v5                               // 00000000D9BC: 0ADA0B6D
	v_mul_f32_e32 v110, v110, v6                               // 00000000D9C0: 0ADC0D6E
	v_mul_f32_e32 v111, v111, v7                               // 00000000D9C4: 0ADE0F6F
	v_mul_f32_e32 v108, v108, v172                             // 00000000D9C8: 0AD9596C
	v_mul_f32_e32 v109, v109, v173                             // 00000000D9CC: 0ADB5B6D
	v_mul_f32_e32 v110, v110, v174                             // 00000000D9D0: 0ADD5D6E
	v_mul_f32_e32 v111, v111, v175                             // 00000000D9D4: 0ADF5F6F
	v_pk_mul_f32 v[4:5], v[112:113], v[112:113]                // 00000000D9D8: D3B14004 1802E170
	v_pk_mul_f32 v[6:7], v[114:115], v[114:115]                // 00000000D9E0: D3B14006 1802E572
	v_pk_fma_f32 v[4:5], v[4:5], s[78:79], v[8:9]              // 00000000D9E8: D3B04004 1C209D04
	v_pk_fma_f32 v[6:7], v[6:7], s[78:79], v[8:9]              // 00000000D9F0: D3B04006 1C209D06
	v_pk_mul_f32 v[4:5], v[4:5], v[112:113]                    // 00000000D9F8: D3B14004 1802E104
	v_pk_mul_f32 v[6:7], v[6:7], v[114:115]                    // 00000000DA00: D3B14006 1802E506
	v_pk_mul_f32 v[4:5], v[4:5], s[60:61]                      // 00000000DA08: D3B14004 18007904
	v_pk_mul_f32 v[6:7], v[6:7], s[60:61]                      // 00000000DA10: D3B14006 18007906
	v_exp_f32_e32 v4, v4                                       // 00000000DA18: 7E084104
	v_exp_f32_e32 v5, v5                                       // 00000000DA1C: 7E0A4105
	v_exp_f32_e32 v6, v6                                       // 00000000DA20: 7E0C4106
	v_exp_f32_e32 v7, v7                                       // 00000000DA24: 7E0E4107
	v_add_f32_e64 v4, v4, 1.0                                  // 00000000DA28: D1010004 0001E504
	v_add_f32_e64 v5, v5, 1.0                                  // 00000000DA30: D1010005 0001E505
	v_add_f32_e64 v6, v6, 1.0                                  // 00000000DA38: D1010006 0001E506
	v_add_f32_e64 v7, v7, 1.0                                  // 00000000DA40: D1010007 0001E507
	v_rcp_f32_e32 v4, v4                                       // 00000000DA48: 7E084504
	v_rcp_f32_e32 v5, v5                                       // 00000000DA4C: 7E0A4505
	v_rcp_f32_e32 v6, v6                                       // 00000000DA50: 7E0C4506
	v_rcp_f32_e32 v7, v7                                       // 00000000DA54: 7E0E4507
	v_mul_f32_e32 v112, v112, v4                               // 00000000DA58: 0AE00970
	v_mul_f32_e32 v113, v113, v5                               // 00000000DA5C: 0AE20B71
	v_mul_f32_e32 v114, v114, v6                               // 00000000DA60: 0AE40D72
	v_mul_f32_e32 v115, v115, v7                               // 00000000DA64: 0AE60F73
	v_mul_f32_e32 v112, v112, v176                             // 00000000DA68: 0AE16170
	v_mul_f32_e32 v113, v113, v177                             // 00000000DA6C: 0AE36371
	v_mul_f32_e32 v114, v114, v178                             // 00000000DA70: 0AE56572
	v_mul_f32_e32 v115, v115, v179                             // 00000000DA74: 0AE76773
	v_pk_mul_f32 v[4:5], v[116:117], v[116:117]                // 00000000DA78: D3B14004 1802E974
	v_pk_mul_f32 v[6:7], v[118:119], v[118:119]                // 00000000DA80: D3B14006 1802ED76
	v_pk_fma_f32 v[4:5], v[4:5], s[78:79], v[8:9]              // 00000000DA88: D3B04004 1C209D04
	v_pk_fma_f32 v[6:7], v[6:7], s[78:79], v[8:9]              // 00000000DA90: D3B04006 1C209D06
	v_pk_mul_f32 v[4:5], v[4:5], v[116:117]                    // 00000000DA98: D3B14004 1802E904
	v_pk_mul_f32 v[6:7], v[6:7], v[118:119]                    // 00000000DAA0: D3B14006 1802ED06
	v_pk_mul_f32 v[4:5], v[4:5], s[60:61]                      // 00000000DAA8: D3B14004 18007904
	v_pk_mul_f32 v[6:7], v[6:7], s[60:61]                      // 00000000DAB0: D3B14006 18007906
	v_exp_f32_e32 v4, v4                                       // 00000000DAB8: 7E084104
	v_exp_f32_e32 v5, v5                                       // 00000000DABC: 7E0A4105
	v_exp_f32_e32 v6, v6                                       // 00000000DAC0: 7E0C4106
	v_exp_f32_e32 v7, v7                                       // 00000000DAC4: 7E0E4107
	v_add_f32_e64 v4, v4, 1.0                                  // 00000000DAC8: D1010004 0001E504
	v_add_f32_e64 v5, v5, 1.0                                  // 00000000DAD0: D1010005 0001E505
	v_add_f32_e64 v6, v6, 1.0                                  // 00000000DAD8: D1010006 0001E506
	v_add_f32_e64 v7, v7, 1.0                                  // 00000000DAE0: D1010007 0001E507
	v_rcp_f32_e32 v4, v4                                       // 00000000DAE8: 7E084504
	v_rcp_f32_e32 v5, v5                                       // 00000000DAEC: 7E0A4505
	v_rcp_f32_e32 v6, v6                                       // 00000000DAF0: 7E0C4506
	v_rcp_f32_e32 v7, v7                                       // 00000000DAF4: 7E0E4507
	v_mul_f32_e32 v116, v116, v4                               // 00000000DAF8: 0AE80974
	v_mul_f32_e32 v117, v117, v5                               // 00000000DAFC: 0AEA0B75
	v_mul_f32_e32 v118, v118, v6                               // 00000000DB00: 0AEC0D76
	v_mul_f32_e32 v119, v119, v7                               // 00000000DB04: 0AEE0F77
	v_mul_f32_e32 v116, v116, v180                             // 00000000DB08: 0AE96974
	v_mul_f32_e32 v117, v117, v181                             // 00000000DB0C: 0AEB6B75
	v_mul_f32_e32 v118, v118, v182                             // 00000000DB10: 0AED6D76
	v_mul_f32_e32 v119, v119, v183                             // 00000000DB14: 0AEF6F77
	v_pk_mul_f32 v[4:5], v[120:121], v[120:121]                // 00000000DB18: D3B14004 1802F178
	v_pk_mul_f32 v[6:7], v[122:123], v[122:123]                // 00000000DB20: D3B14006 1802F57A
	v_pk_fma_f32 v[4:5], v[4:5], s[78:79], v[8:9]              // 00000000DB28: D3B04004 1C209D04
	v_pk_fma_f32 v[6:7], v[6:7], s[78:79], v[8:9]              // 00000000DB30: D3B04006 1C209D06
	v_pk_mul_f32 v[4:5], v[4:5], v[120:121]                    // 00000000DB38: D3B14004 1802F104
	v_pk_mul_f32 v[6:7], v[6:7], v[122:123]                    // 00000000DB40: D3B14006 1802F506
	v_pk_mul_f32 v[4:5], v[4:5], s[60:61]                      // 00000000DB48: D3B14004 18007904
	v_pk_mul_f32 v[6:7], v[6:7], s[60:61]                      // 00000000DB50: D3B14006 18007906
	v_exp_f32_e32 v4, v4                                       // 00000000DB58: 7E084104
	v_exp_f32_e32 v5, v5                                       // 00000000DB5C: 7E0A4105
	v_exp_f32_e32 v6, v6                                       // 00000000DB60: 7E0C4106
	v_exp_f32_e32 v7, v7                                       // 00000000DB64: 7E0E4107
	v_add_f32_e64 v4, v4, 1.0                                  // 00000000DB68: D1010004 0001E504
	v_add_f32_e64 v5, v5, 1.0                                  // 00000000DB70: D1010005 0001E505
	v_add_f32_e64 v6, v6, 1.0                                  // 00000000DB78: D1010006 0001E506
	v_add_f32_e64 v7, v7, 1.0                                  // 00000000DB80: D1010007 0001E507
	v_rcp_f32_e32 v4, v4                                       // 00000000DB88: 7E084504
	v_rcp_f32_e32 v5, v5                                       // 00000000DB8C: 7E0A4505
	v_rcp_f32_e32 v6, v6                                       // 00000000DB90: 7E0C4506
	v_rcp_f32_e32 v7, v7                                       // 00000000DB94: 7E0E4507
	v_mul_f32_e32 v120, v120, v4                               // 00000000DB98: 0AF00978
	v_mul_f32_e32 v121, v121, v5                               // 00000000DB9C: 0AF20B79
	v_mul_f32_e32 v122, v122, v6                               // 00000000DBA0: 0AF40D7A
	v_mul_f32_e32 v123, v123, v7                               // 00000000DBA4: 0AF60F7B
	v_mul_f32_e32 v120, v120, v184                             // 00000000DBA8: 0AF17178
	v_mul_f32_e32 v121, v121, v185                             // 00000000DBAC: 0AF37379
	v_mul_f32_e32 v122, v122, v186                             // 00000000DBB0: 0AF5757A
	v_mul_f32_e32 v123, v123, v187                             // 00000000DBB4: 0AF7777B
	v_pk_mul_f32 v[4:5], v[124:125], v[124:125]                // 00000000DBB8: D3B14004 1802F97C
	v_pk_mul_f32 v[6:7], v[126:127], v[126:127]                // 00000000DBC0: D3B14006 1802FD7E
	v_pk_fma_f32 v[4:5], v[4:5], s[78:79], v[8:9]              // 00000000DBC8: D3B04004 1C209D04
	v_pk_fma_f32 v[6:7], v[6:7], s[78:79], v[8:9]              // 00000000DBD0: D3B04006 1C209D06
	v_pk_mul_f32 v[4:5], v[4:5], v[124:125]                    // 00000000DBD8: D3B14004 1802F904
	v_pk_mul_f32 v[6:7], v[6:7], v[126:127]                    // 00000000DBE0: D3B14006 1802FD06
	v_pk_mul_f32 v[4:5], v[4:5], s[60:61]                      // 00000000DBE8: D3B14004 18007904
	v_pk_mul_f32 v[6:7], v[6:7], s[60:61]                      // 00000000DBF0: D3B14006 18007906
	v_exp_f32_e32 v4, v4                                       // 00000000DBF8: 7E084104
	v_exp_f32_e32 v5, v5                                       // 00000000DBFC: 7E0A4105
	v_exp_f32_e32 v6, v6                                       // 00000000DC00: 7E0C4106
	v_exp_f32_e32 v7, v7                                       // 00000000DC04: 7E0E4107
	v_add_f32_e64 v4, v4, 1.0                                  // 00000000DC08: D1010004 0001E504
	v_add_f32_e64 v5, v5, 1.0                                  // 00000000DC10: D1010005 0001E505
	v_add_f32_e64 v6, v6, 1.0                                  // 00000000DC18: D1010006 0001E506
	v_add_f32_e64 v7, v7, 1.0                                  // 00000000DC20: D1010007 0001E507
	v_rcp_f32_e32 v4, v4                                       // 00000000DC28: 7E084504
	v_rcp_f32_e32 v5, v5                                       // 00000000DC2C: 7E0A4505
	v_rcp_f32_e32 v6, v6                                       // 00000000DC30: 7E0C4506
	v_rcp_f32_e32 v7, v7                                       // 00000000DC34: 7E0E4507
	v_mul_f32_e32 v124, v124, v4                               // 00000000DC38: 0AF8097C
	v_mul_f32_e32 v125, v125, v5                               // 00000000DC3C: 0AFA0B7D
	v_mul_f32_e32 v126, v126, v6                               // 00000000DC40: 0AFC0D7E
	v_mul_f32_e32 v127, v127, v7                               // 00000000DC44: 0AFE0F7F
	v_mul_f32_e32 v124, v124, v188                             // 00000000DC48: 0AF9797C
	v_mul_f32_e32 v125, v125, v189                             // 00000000DC4C: 0AFB7B7D
	v_mul_f32_e32 v126, v126, v190                             // 00000000DC50: 0AFD7D7E
	v_mul_f32_e32 v127, v127, v191                             // 00000000DC54: 0AFF7F7F
	v_pk_mul_f32 v[4:5], v[128:129], v[128:129]                // 00000000DC58: D3B14004 18030180
	v_pk_mul_f32 v[6:7], v[130:131], v[130:131]                // 00000000DC60: D3B14006 18030582
	v_pk_fma_f32 v[4:5], v[4:5], s[78:79], v[8:9]              // 00000000DC68: D3B04004 1C209D04
	v_pk_fma_f32 v[6:7], v[6:7], s[78:79], v[8:9]              // 00000000DC70: D3B04006 1C209D06
	v_pk_mul_f32 v[4:5], v[4:5], v[128:129]                    // 00000000DC78: D3B14004 18030104
	v_pk_mul_f32 v[6:7], v[6:7], v[130:131]                    // 00000000DC80: D3B14006 18030506
	v_pk_mul_f32 v[4:5], v[4:5], s[60:61]                      // 00000000DC88: D3B14004 18007904
	v_pk_mul_f32 v[6:7], v[6:7], s[60:61]                      // 00000000DC90: D3B14006 18007906
	v_exp_f32_e32 v4, v4                                       // 00000000DC98: 7E084104
	v_exp_f32_e32 v5, v5                                       // 00000000DC9C: 7E0A4105
	v_exp_f32_e32 v6, v6                                       // 00000000DCA0: 7E0C4106
	v_exp_f32_e32 v7, v7                                       // 00000000DCA4: 7E0E4107
	v_add_f32_e64 v4, v4, 1.0                                  // 00000000DCA8: D1010004 0001E504
	v_add_f32_e64 v5, v5, 1.0                                  // 00000000DCB0: D1010005 0001E505
	v_add_f32_e64 v6, v6, 1.0                                  // 00000000DCB8: D1010006 0001E506
	v_add_f32_e64 v7, v7, 1.0                                  // 00000000DCC0: D1010007 0001E507
	v_rcp_f32_e32 v4, v4                                       // 00000000DCC8: 7E084504
	v_rcp_f32_e32 v5, v5                                       // 00000000DCCC: 7E0A4505
	v_rcp_f32_e32 v6, v6                                       // 00000000DCD0: 7E0C4506
	v_rcp_f32_e32 v7, v7                                       // 00000000DCD4: 7E0E4507
	v_mul_f32_e32 v128, v128, v4                               // 00000000DCD8: 0B000980
	v_mul_f32_e32 v129, v129, v5                               // 00000000DCDC: 0B020B81
	v_mul_f32_e32 v130, v130, v6                               // 00000000DCE0: 0B040D82
	v_mul_f32_e32 v131, v131, v7                               // 00000000DCE4: 0B060F83
	v_mul_f32_e32 v128, v128, v192                             // 00000000DCE8: 0B018180
	v_mul_f32_e32 v129, v129, v193                             // 00000000DCEC: 0B038381
	v_mul_f32_e32 v130, v130, v194                             // 00000000DCF0: 0B058582
	v_mul_f32_e32 v131, v131, v195                             // 00000000DCF4: 0B078783
	v_pk_mul_f32 v[4:5], v[132:133], v[132:133]                // 00000000DCF8: D3B14004 18030984
	v_pk_mul_f32 v[6:7], v[134:135], v[134:135]                // 00000000DD00: D3B14006 18030D86
	v_pk_fma_f32 v[4:5], v[4:5], s[78:79], v[8:9]              // 00000000DD08: D3B04004 1C209D04
	v_pk_fma_f32 v[6:7], v[6:7], s[78:79], v[8:9]              // 00000000DD10: D3B04006 1C209D06
	v_pk_mul_f32 v[4:5], v[4:5], v[132:133]                    // 00000000DD18: D3B14004 18030904
	v_pk_mul_f32 v[6:7], v[6:7], v[134:135]                    // 00000000DD20: D3B14006 18030D06
	v_pk_mul_f32 v[4:5], v[4:5], s[60:61]                      // 00000000DD28: D3B14004 18007904
	v_pk_mul_f32 v[6:7], v[6:7], s[60:61]                      // 00000000DD30: D3B14006 18007906
	v_exp_f32_e32 v4, v4                                       // 00000000DD38: 7E084104
	v_exp_f32_e32 v5, v5                                       // 00000000DD3C: 7E0A4105
	v_exp_f32_e32 v6, v6                                       // 00000000DD40: 7E0C4106
	v_exp_f32_e32 v7, v7                                       // 00000000DD44: 7E0E4107
	v_add_f32_e64 v4, v4, 1.0                                  // 00000000DD48: D1010004 0001E504
	v_add_f32_e64 v5, v5, 1.0                                  // 00000000DD50: D1010005 0001E505
	v_add_f32_e64 v6, v6, 1.0                                  // 00000000DD58: D1010006 0001E506
	v_add_f32_e64 v7, v7, 1.0                                  // 00000000DD60: D1010007 0001E507
	v_rcp_f32_e32 v4, v4                                       // 00000000DD68: 7E084504
	v_rcp_f32_e32 v5, v5                                       // 00000000DD6C: 7E0A4505
	v_rcp_f32_e32 v6, v6                                       // 00000000DD70: 7E0C4506
	v_rcp_f32_e32 v7, v7                                       // 00000000DD74: 7E0E4507
	v_mul_f32_e32 v132, v132, v4                               // 00000000DD78: 0B080984
	v_mul_f32_e32 v133, v133, v5                               // 00000000DD7C: 0B0A0B85
	v_mul_f32_e32 v134, v134, v6                               // 00000000DD80: 0B0C0D86
	v_mul_f32_e32 v135, v135, v7                               // 00000000DD84: 0B0E0F87
	v_mul_f32_e32 v132, v132, v196                             // 00000000DD88: 0B098984
	v_mul_f32_e32 v133, v133, v197                             // 00000000DD8C: 0B0B8B85
	v_mul_f32_e32 v134, v134, v198                             // 00000000DD90: 0B0D8D86
	v_mul_f32_e32 v135, v135, v199                             // 00000000DD94: 0B0F8F87
	v_pk_mul_f32 v[4:5], v[136:137], v[136:137]                // 00000000DD98: D3B14004 18031188
	v_pk_mul_f32 v[6:7], v[138:139], v[138:139]                // 00000000DDA0: D3B14006 1803158A
	v_pk_fma_f32 v[4:5], v[4:5], s[78:79], v[8:9]              // 00000000DDA8: D3B04004 1C209D04
	v_pk_fma_f32 v[6:7], v[6:7], s[78:79], v[8:9]              // 00000000DDB0: D3B04006 1C209D06
	v_pk_mul_f32 v[4:5], v[4:5], v[136:137]                    // 00000000DDB8: D3B14004 18031104
	v_pk_mul_f32 v[6:7], v[6:7], v[138:139]                    // 00000000DDC0: D3B14006 18031506
	v_pk_mul_f32 v[4:5], v[4:5], s[60:61]                      // 00000000DDC8: D3B14004 18007904
	v_pk_mul_f32 v[6:7], v[6:7], s[60:61]                      // 00000000DDD0: D3B14006 18007906
	v_exp_f32_e32 v4, v4                                       // 00000000DDD8: 7E084104
	v_exp_f32_e32 v5, v5                                       // 00000000DDDC: 7E0A4105
	v_exp_f32_e32 v6, v6                                       // 00000000DDE0: 7E0C4106
	v_exp_f32_e32 v7, v7                                       // 00000000DDE4: 7E0E4107
	v_add_f32_e64 v4, v4, 1.0                                  // 00000000DDE8: D1010004 0001E504
	v_add_f32_e64 v5, v5, 1.0                                  // 00000000DDF0: D1010005 0001E505
	v_add_f32_e64 v6, v6, 1.0                                  // 00000000DDF8: D1010006 0001E506
	v_add_f32_e64 v7, v7, 1.0                                  // 00000000DE00: D1010007 0001E507
	v_rcp_f32_e32 v4, v4                                       // 00000000DE08: 7E084504
	v_rcp_f32_e32 v5, v5                                       // 00000000DE0C: 7E0A4505
	v_rcp_f32_e32 v6, v6                                       // 00000000DE10: 7E0C4506
	v_rcp_f32_e32 v7, v7                                       // 00000000DE14: 7E0E4507
	v_mul_f32_e32 v136, v136, v4                               // 00000000DE18: 0B100988
	v_mul_f32_e32 v137, v137, v5                               // 00000000DE1C: 0B120B89
	v_mul_f32_e32 v138, v138, v6                               // 00000000DE20: 0B140D8A
	v_mul_f32_e32 v139, v139, v7                               // 00000000DE24: 0B160F8B
	v_mul_f32_e32 v136, v136, v200                             // 00000000DE28: 0B119188
	v_mul_f32_e32 v137, v137, v201                             // 00000000DE2C: 0B139389
	v_mul_f32_e32 v138, v138, v202                             // 00000000DE30: 0B15958A
	v_mul_f32_e32 v139, v139, v203                             // 00000000DE34: 0B17978B
	v_pk_mul_f32 v[4:5], v[140:141], v[140:141]                // 00000000DE38: D3B14004 1803198C
	v_pk_mul_f32 v[6:7], v[142:143], v[142:143]                // 00000000DE40: D3B14006 18031D8E
	v_pk_fma_f32 v[4:5], v[4:5], s[78:79], v[8:9]              // 00000000DE48: D3B04004 1C209D04
	v_pk_fma_f32 v[6:7], v[6:7], s[78:79], v[8:9]              // 00000000DE50: D3B04006 1C209D06
	v_pk_mul_f32 v[4:5], v[4:5], v[140:141]                    // 00000000DE58: D3B14004 18031904
	v_pk_mul_f32 v[6:7], v[6:7], v[142:143]                    // 00000000DE60: D3B14006 18031D06
	v_pk_mul_f32 v[4:5], v[4:5], s[60:61]                      // 00000000DE68: D3B14004 18007904
	v_pk_mul_f32 v[6:7], v[6:7], s[60:61]                      // 00000000DE70: D3B14006 18007906
	v_exp_f32_e32 v4, v4                                       // 00000000DE78: 7E084104
	v_exp_f32_e32 v5, v5                                       // 00000000DE7C: 7E0A4105
	v_exp_f32_e32 v6, v6                                       // 00000000DE80: 7E0C4106
	v_exp_f32_e32 v7, v7                                       // 00000000DE84: 7E0E4107
	v_add_f32_e64 v4, v4, 1.0                                  // 00000000DE88: D1010004 0001E504
	v_add_f32_e64 v5, v5, 1.0                                  // 00000000DE90: D1010005 0001E505
	v_add_f32_e64 v6, v6, 1.0                                  // 00000000DE98: D1010006 0001E506
	v_add_f32_e64 v7, v7, 1.0                                  // 00000000DEA0: D1010007 0001E507
	v_rcp_f32_e32 v4, v4                                       // 00000000DEA8: 7E084504
	v_rcp_f32_e32 v5, v5                                       // 00000000DEAC: 7E0A4505
	v_rcp_f32_e32 v6, v6                                       // 00000000DEB0: 7E0C4506
	v_rcp_f32_e32 v7, v7                                       // 00000000DEB4: 7E0E4507
	v_mul_f32_e32 v140, v140, v4                               // 00000000DEB8: 0B18098C
	v_mul_f32_e32 v141, v141, v5                               // 00000000DEBC: 0B1A0B8D
	v_mul_f32_e32 v142, v142, v6                               // 00000000DEC0: 0B1C0D8E
	v_mul_f32_e32 v143, v143, v7                               // 00000000DEC4: 0B1E0F8F
	v_mul_f32_e32 v140, v140, v204                             // 00000000DEC8: 0B19998C
	v_mul_f32_e32 v141, v141, v205                             // 00000000DECC: 0B1B9B8D
	v_mul_f32_e32 v142, v142, v206                             // 00000000DED0: 0B1D9D8E
	v_mul_f32_e32 v143, v143, v207                             // 00000000DED4: 0B1F9F8F
	s_branch label_2F3A                                        // 00000000DED8: BF820200

000000000000dedc <label_2D3A>:
	v_mul_f32_e64 v4, -v80, s6                                 // 00000000DEDC: D1050004 20000D50
	v_mul_f32_e64 v5, -v81, s6                                 // 00000000DEE4: D1050005 20000D51
	v_mul_f32_e64 v6, -v82, s6                                 // 00000000DEEC: D1050006 20000D52
	v_mul_f32_e64 v7, -v83, s6                                 // 00000000DEF4: D1050007 20000D53
	v_exp_f32_e32 v4, v4                                       // 00000000DEFC: 7E084104
	v_exp_f32_e32 v5, v5                                       // 00000000DF00: 7E0A4105
	v_exp_f32_e32 v6, v6                                       // 00000000DF04: 7E0C4106
	v_exp_f32_e32 v7, v7                                       // 00000000DF08: 7E0E4107
	v_add_f32_e64 v4, v4, 1.0                                  // 00000000DF0C: D1010004 0001E504
	v_add_f32_e64 v5, v5, 1.0                                  // 00000000DF14: D1010005 0001E505
	v_add_f32_e64 v6, v6, 1.0                                  // 00000000DF1C: D1010006 0001E506
	v_add_f32_e64 v7, v7, 1.0                                  // 00000000DF24: D1010007 0001E507
	v_rcp_f32_e32 v4, v4                                       // 00000000DF2C: 7E084504
	v_rcp_f32_e32 v5, v5                                       // 00000000DF30: 7E0A4505
	v_rcp_f32_e32 v6, v6                                       // 00000000DF34: 7E0C4506
	v_rcp_f32_e32 v7, v7                                       // 00000000DF38: 7E0E4507
	v_mul_f32_e32 v80, v80, v4                                 // 00000000DF3C: 0AA00950
	v_mul_f32_e32 v81, v81, v5                                 // 00000000DF40: 0AA20B51
	v_mul_f32_e32 v82, v82, v6                                 // 00000000DF44: 0AA40D52
	v_mul_f32_e32 v83, v83, v7                                 // 00000000DF48: 0AA60F53
	v_mul_f32_e32 v80, v80, v144                               // 00000000DF4C: 0AA12150
	v_mul_f32_e32 v81, v81, v145                               // 00000000DF50: 0AA32351
	v_mul_f32_e32 v82, v82, v146                               // 00000000DF54: 0AA52552
	v_mul_f32_e32 v83, v83, v147                               // 00000000DF58: 0AA72753
	v_mul_f32_e64 v4, -v84, s6                                 // 00000000DF5C: D1050004 20000D54
	v_mul_f32_e64 v5, -v85, s6                                 // 00000000DF64: D1050005 20000D55
	v_mul_f32_e64 v6, -v86, s6                                 // 00000000DF6C: D1050006 20000D56
	v_mul_f32_e64 v7, -v87, s6                                 // 00000000DF74: D1050007 20000D57
	v_exp_f32_e32 v4, v4                                       // 00000000DF7C: 7E084104
	v_exp_f32_e32 v5, v5                                       // 00000000DF80: 7E0A4105
	v_exp_f32_e32 v6, v6                                       // 00000000DF84: 7E0C4106
	v_exp_f32_e32 v7, v7                                       // 00000000DF88: 7E0E4107
	v_add_f32_e64 v4, v4, 1.0                                  // 00000000DF8C: D1010004 0001E504
	v_add_f32_e64 v5, v5, 1.0                                  // 00000000DF94: D1010005 0001E505
	v_add_f32_e64 v6, v6, 1.0                                  // 00000000DF9C: D1010006 0001E506
	v_add_f32_e64 v7, v7, 1.0                                  // 00000000DFA4: D1010007 0001E507
	v_rcp_f32_e32 v4, v4                                       // 00000000DFAC: 7E084504
	v_rcp_f32_e32 v5, v5                                       // 00000000DFB0: 7E0A4505
	v_rcp_f32_e32 v6, v6                                       // 00000000DFB4: 7E0C4506
	v_rcp_f32_e32 v7, v7                                       // 00000000DFB8: 7E0E4507
	v_mul_f32_e32 v84, v84, v4                                 // 00000000DFBC: 0AA80954
	v_mul_f32_e32 v85, v85, v5                                 // 00000000DFC0: 0AAA0B55
	v_mul_f32_e32 v86, v86, v6                                 // 00000000DFC4: 0AAC0D56
	v_mul_f32_e32 v87, v87, v7                                 // 00000000DFC8: 0AAE0F57
	v_mul_f32_e32 v84, v84, v148                               // 00000000DFCC: 0AA92954
	v_mul_f32_e32 v85, v85, v149                               // 00000000DFD0: 0AAB2B55
	v_mul_f32_e32 v86, v86, v150                               // 00000000DFD4: 0AAD2D56
	v_mul_f32_e32 v87, v87, v151                               // 00000000DFD8: 0AAF2F57
	v_mul_f32_e64 v4, -v88, s6                                 // 00000000DFDC: D1050004 20000D58
	v_mul_f32_e64 v5, -v89, s6                                 // 00000000DFE4: D1050005 20000D59
	v_mul_f32_e64 v6, -v90, s6                                 // 00000000DFEC: D1050006 20000D5A
	v_mul_f32_e64 v7, -v91, s6                                 // 00000000DFF4: D1050007 20000D5B
	v_exp_f32_e32 v4, v4                                       // 00000000DFFC: 7E084104
	v_exp_f32_e32 v5, v5                                       // 00000000E000: 7E0A4105
	v_exp_f32_e32 v6, v6                                       // 00000000E004: 7E0C4106
	v_exp_f32_e32 v7, v7                                       // 00000000E008: 7E0E4107
	v_add_f32_e64 v4, v4, 1.0                                  // 00000000E00C: D1010004 0001E504
	v_add_f32_e64 v5, v5, 1.0                                  // 00000000E014: D1010005 0001E505
	v_add_f32_e64 v6, v6, 1.0                                  // 00000000E01C: D1010006 0001E506
	v_add_f32_e64 v7, v7, 1.0                                  // 00000000E024: D1010007 0001E507
	v_rcp_f32_e32 v4, v4                                       // 00000000E02C: 7E084504
	v_rcp_f32_e32 v5, v5                                       // 00000000E030: 7E0A4505
	v_rcp_f32_e32 v6, v6                                       // 00000000E034: 7E0C4506
	v_rcp_f32_e32 v7, v7                                       // 00000000E038: 7E0E4507
	v_mul_f32_e32 v88, v88, v4                                 // 00000000E03C: 0AB00958
	v_mul_f32_e32 v89, v89, v5                                 // 00000000E040: 0AB20B59
	v_mul_f32_e32 v90, v90, v6                                 // 00000000E044: 0AB40D5A
	v_mul_f32_e32 v91, v91, v7                                 // 00000000E048: 0AB60F5B
	v_mul_f32_e32 v88, v88, v152                               // 00000000E04C: 0AB13158
	v_mul_f32_e32 v89, v89, v153                               // 00000000E050: 0AB33359
	v_mul_f32_e32 v90, v90, v154                               // 00000000E054: 0AB5355A
	v_mul_f32_e32 v91, v91, v155                               // 00000000E058: 0AB7375B
	v_mul_f32_e64 v4, -v92, s6                                 // 00000000E05C: D1050004 20000D5C
	v_mul_f32_e64 v5, -v93, s6                                 // 00000000E064: D1050005 20000D5D
	v_mul_f32_e64 v6, -v94, s6                                 // 00000000E06C: D1050006 20000D5E
	v_mul_f32_e64 v7, -v95, s6                                 // 00000000E074: D1050007 20000D5F
	v_exp_f32_e32 v4, v4                                       // 00000000E07C: 7E084104
	v_exp_f32_e32 v5, v5                                       // 00000000E080: 7E0A4105
	v_exp_f32_e32 v6, v6                                       // 00000000E084: 7E0C4106
	v_exp_f32_e32 v7, v7                                       // 00000000E088: 7E0E4107
	v_add_f32_e64 v4, v4, 1.0                                  // 00000000E08C: D1010004 0001E504
	v_add_f32_e64 v5, v5, 1.0                                  // 00000000E094: D1010005 0001E505
	v_add_f32_e64 v6, v6, 1.0                                  // 00000000E09C: D1010006 0001E506
	v_add_f32_e64 v7, v7, 1.0                                  // 00000000E0A4: D1010007 0001E507
	v_rcp_f32_e32 v4, v4                                       // 00000000E0AC: 7E084504
	v_rcp_f32_e32 v5, v5                                       // 00000000E0B0: 7E0A4505
	v_rcp_f32_e32 v6, v6                                       // 00000000E0B4: 7E0C4506
	v_rcp_f32_e32 v7, v7                                       // 00000000E0B8: 7E0E4507
	v_mul_f32_e32 v92, v92, v4                                 // 00000000E0BC: 0AB8095C
	v_mul_f32_e32 v93, v93, v5                                 // 00000000E0C0: 0ABA0B5D
	v_mul_f32_e32 v94, v94, v6                                 // 00000000E0C4: 0ABC0D5E
	v_mul_f32_e32 v95, v95, v7                                 // 00000000E0C8: 0ABE0F5F
	v_mul_f32_e32 v92, v92, v156                               // 00000000E0CC: 0AB9395C
	v_mul_f32_e32 v93, v93, v157                               // 00000000E0D0: 0ABB3B5D
	v_mul_f32_e32 v94, v94, v158                               // 00000000E0D4: 0ABD3D5E
	v_mul_f32_e32 v95, v95, v159                               // 00000000E0D8: 0ABF3F5F
	v_mul_f32_e64 v4, -v96, s6                                 // 00000000E0DC: D1050004 20000D60
	v_mul_f32_e64 v5, -v97, s6                                 // 00000000E0E4: D1050005 20000D61
	v_mul_f32_e64 v6, -v98, s6                                 // 00000000E0EC: D1050006 20000D62
	v_mul_f32_e64 v7, -v99, s6                                 // 00000000E0F4: D1050007 20000D63
	v_exp_f32_e32 v4, v4                                       // 00000000E0FC: 7E084104
	v_exp_f32_e32 v5, v5                                       // 00000000E100: 7E0A4105
	v_exp_f32_e32 v6, v6                                       // 00000000E104: 7E0C4106
	v_exp_f32_e32 v7, v7                                       // 00000000E108: 7E0E4107
	v_add_f32_e64 v4, v4, 1.0                                  // 00000000E10C: D1010004 0001E504
	v_add_f32_e64 v5, v5, 1.0                                  // 00000000E114: D1010005 0001E505
	v_add_f32_e64 v6, v6, 1.0                                  // 00000000E11C: D1010006 0001E506
	v_add_f32_e64 v7, v7, 1.0                                  // 00000000E124: D1010007 0001E507
	v_rcp_f32_e32 v4, v4                                       // 00000000E12C: 7E084504
	v_rcp_f32_e32 v5, v5                                       // 00000000E130: 7E0A4505
	v_rcp_f32_e32 v6, v6                                       // 00000000E134: 7E0C4506
	v_rcp_f32_e32 v7, v7                                       // 00000000E138: 7E0E4507
	v_mul_f32_e32 v96, v96, v4                                 // 00000000E13C: 0AC00960
	v_mul_f32_e32 v97, v97, v5                                 // 00000000E140: 0AC20B61
	v_mul_f32_e32 v98, v98, v6                                 // 00000000E144: 0AC40D62
	v_mul_f32_e32 v99, v99, v7                                 // 00000000E148: 0AC60F63
	v_mul_f32_e32 v96, v96, v160                               // 00000000E14C: 0AC14160
	v_mul_f32_e32 v97, v97, v161                               // 00000000E150: 0AC34361
	v_mul_f32_e32 v98, v98, v162                               // 00000000E154: 0AC54562
	v_mul_f32_e32 v99, v99, v163                               // 00000000E158: 0AC74763
	v_mul_f32_e64 v4, -v100, s6                                // 00000000E15C: D1050004 20000D64
	v_mul_f32_e64 v5, -v101, s6                                // 00000000E164: D1050005 20000D65
	v_mul_f32_e64 v6, -v102, s6                                // 00000000E16C: D1050006 20000D66
	v_mul_f32_e64 v7, -v103, s6                                // 00000000E174: D1050007 20000D67
	v_exp_f32_e32 v4, v4                                       // 00000000E17C: 7E084104
	v_exp_f32_e32 v5, v5                                       // 00000000E180: 7E0A4105
	v_exp_f32_e32 v6, v6                                       // 00000000E184: 7E0C4106
	v_exp_f32_e32 v7, v7                                       // 00000000E188: 7E0E4107
	v_add_f32_e64 v4, v4, 1.0                                  // 00000000E18C: D1010004 0001E504
	v_add_f32_e64 v5, v5, 1.0                                  // 00000000E194: D1010005 0001E505
	v_add_f32_e64 v6, v6, 1.0                                  // 00000000E19C: D1010006 0001E506
	v_add_f32_e64 v7, v7, 1.0                                  // 00000000E1A4: D1010007 0001E507
	v_rcp_f32_e32 v4, v4                                       // 00000000E1AC: 7E084504
	v_rcp_f32_e32 v5, v5                                       // 00000000E1B0: 7E0A4505
	v_rcp_f32_e32 v6, v6                                       // 00000000E1B4: 7E0C4506
	v_rcp_f32_e32 v7, v7                                       // 00000000E1B8: 7E0E4507
	v_mul_f32_e32 v100, v100, v4                               // 00000000E1BC: 0AC80964
	v_mul_f32_e32 v101, v101, v5                               // 00000000E1C0: 0ACA0B65
	v_mul_f32_e32 v102, v102, v6                               // 00000000E1C4: 0ACC0D66
	v_mul_f32_e32 v103, v103, v7                               // 00000000E1C8: 0ACE0F67
	v_mul_f32_e32 v100, v100, v164                             // 00000000E1CC: 0AC94964
	v_mul_f32_e32 v101, v101, v165                             // 00000000E1D0: 0ACB4B65
	v_mul_f32_e32 v102, v102, v166                             // 00000000E1D4: 0ACD4D66
	v_mul_f32_e32 v103, v103, v167                             // 00000000E1D8: 0ACF4F67
	v_mul_f32_e64 v4, -v104, s6                                // 00000000E1DC: D1050004 20000D68
	v_mul_f32_e64 v5, -v105, s6                                // 00000000E1E4: D1050005 20000D69
	v_mul_f32_e64 v6, -v106, s6                                // 00000000E1EC: D1050006 20000D6A
	v_mul_f32_e64 v7, -v107, s6                                // 00000000E1F4: D1050007 20000D6B
	v_exp_f32_e32 v4, v4                                       // 00000000E1FC: 7E084104
	v_exp_f32_e32 v5, v5                                       // 00000000E200: 7E0A4105
	v_exp_f32_e32 v6, v6                                       // 00000000E204: 7E0C4106
	v_exp_f32_e32 v7, v7                                       // 00000000E208: 7E0E4107
	v_add_f32_e64 v4, v4, 1.0                                  // 00000000E20C: D1010004 0001E504
	v_add_f32_e64 v5, v5, 1.0                                  // 00000000E214: D1010005 0001E505
	v_add_f32_e64 v6, v6, 1.0                                  // 00000000E21C: D1010006 0001E506
	v_add_f32_e64 v7, v7, 1.0                                  // 00000000E224: D1010007 0001E507
	v_rcp_f32_e32 v4, v4                                       // 00000000E22C: 7E084504
	v_rcp_f32_e32 v5, v5                                       // 00000000E230: 7E0A4505
	v_rcp_f32_e32 v6, v6                                       // 00000000E234: 7E0C4506
	v_rcp_f32_e32 v7, v7                                       // 00000000E238: 7E0E4507
	v_mul_f32_e32 v104, v104, v4                               // 00000000E23C: 0AD00968
	v_mul_f32_e32 v105, v105, v5                               // 00000000E240: 0AD20B69
	v_mul_f32_e32 v106, v106, v6                               // 00000000E244: 0AD40D6A
	v_mul_f32_e32 v107, v107, v7                               // 00000000E248: 0AD60F6B
	v_mul_f32_e32 v104, v104, v168                             // 00000000E24C: 0AD15168
	v_mul_f32_e32 v105, v105, v169                             // 00000000E250: 0AD35369
	v_mul_f32_e32 v106, v106, v170                             // 00000000E254: 0AD5556A
	v_mul_f32_e32 v107, v107, v171                             // 00000000E258: 0AD7576B
	v_mul_f32_e64 v4, -v108, s6                                // 00000000E25C: D1050004 20000D6C
	v_mul_f32_e64 v5, -v109, s6                                // 00000000E264: D1050005 20000D6D
	v_mul_f32_e64 v6, -v110, s6                                // 00000000E26C: D1050006 20000D6E
	v_mul_f32_e64 v7, -v111, s6                                // 00000000E274: D1050007 20000D6F
	v_exp_f32_e32 v4, v4                                       // 00000000E27C: 7E084104
	v_exp_f32_e32 v5, v5                                       // 00000000E280: 7E0A4105
	v_exp_f32_e32 v6, v6                                       // 00000000E284: 7E0C4106
	v_exp_f32_e32 v7, v7                                       // 00000000E288: 7E0E4107
	v_add_f32_e64 v4, v4, 1.0                                  // 00000000E28C: D1010004 0001E504
	v_add_f32_e64 v5, v5, 1.0                                  // 00000000E294: D1010005 0001E505
	v_add_f32_e64 v6, v6, 1.0                                  // 00000000E29C: D1010006 0001E506
	v_add_f32_e64 v7, v7, 1.0                                  // 00000000E2A4: D1010007 0001E507
	v_rcp_f32_e32 v4, v4                                       // 00000000E2AC: 7E084504
	v_rcp_f32_e32 v5, v5                                       // 00000000E2B0: 7E0A4505
	v_rcp_f32_e32 v6, v6                                       // 00000000E2B4: 7E0C4506
	v_rcp_f32_e32 v7, v7                                       // 00000000E2B8: 7E0E4507
	v_mul_f32_e32 v108, v108, v4                               // 00000000E2BC: 0AD8096C
	v_mul_f32_e32 v109, v109, v5                               // 00000000E2C0: 0ADA0B6D
	v_mul_f32_e32 v110, v110, v6                               // 00000000E2C4: 0ADC0D6E
	v_mul_f32_e32 v111, v111, v7                               // 00000000E2C8: 0ADE0F6F
	v_mul_f32_e32 v108, v108, v172                             // 00000000E2CC: 0AD9596C
	v_mul_f32_e32 v109, v109, v173                             // 00000000E2D0: 0ADB5B6D
	v_mul_f32_e32 v110, v110, v174                             // 00000000E2D4: 0ADD5D6E
	v_mul_f32_e32 v111, v111, v175                             // 00000000E2D8: 0ADF5F6F
	v_mul_f32_e64 v4, -v112, s6                                // 00000000E2DC: D1050004 20000D70
	v_mul_f32_e64 v5, -v113, s6                                // 00000000E2E4: D1050005 20000D71
	v_mul_f32_e64 v6, -v114, s6                                // 00000000E2EC: D1050006 20000D72
	v_mul_f32_e64 v7, -v115, s6                                // 00000000E2F4: D1050007 20000D73
	v_exp_f32_e32 v4, v4                                       // 00000000E2FC: 7E084104
	v_exp_f32_e32 v5, v5                                       // 00000000E300: 7E0A4105
	v_exp_f32_e32 v6, v6                                       // 00000000E304: 7E0C4106
	v_exp_f32_e32 v7, v7                                       // 00000000E308: 7E0E4107
	v_add_f32_e64 v4, v4, 1.0                                  // 00000000E30C: D1010004 0001E504
	v_add_f32_e64 v5, v5, 1.0                                  // 00000000E314: D1010005 0001E505
	v_add_f32_e64 v6, v6, 1.0                                  // 00000000E31C: D1010006 0001E506
	v_add_f32_e64 v7, v7, 1.0                                  // 00000000E324: D1010007 0001E507
	v_rcp_f32_e32 v4, v4                                       // 00000000E32C: 7E084504
	v_rcp_f32_e32 v5, v5                                       // 00000000E330: 7E0A4505
	v_rcp_f32_e32 v6, v6                                       // 00000000E334: 7E0C4506
	v_rcp_f32_e32 v7, v7                                       // 00000000E338: 7E0E4507
	v_mul_f32_e32 v112, v112, v4                               // 00000000E33C: 0AE00970
	v_mul_f32_e32 v113, v113, v5                               // 00000000E340: 0AE20B71
	v_mul_f32_e32 v114, v114, v6                               // 00000000E344: 0AE40D72
	v_mul_f32_e32 v115, v115, v7                               // 00000000E348: 0AE60F73
	v_mul_f32_e32 v112, v112, v176                             // 00000000E34C: 0AE16170
	v_mul_f32_e32 v113, v113, v177                             // 00000000E350: 0AE36371
	v_mul_f32_e32 v114, v114, v178                             // 00000000E354: 0AE56572
	v_mul_f32_e32 v115, v115, v179                             // 00000000E358: 0AE76773
	v_mul_f32_e64 v4, -v116, s6                                // 00000000E35C: D1050004 20000D74
	v_mul_f32_e64 v5, -v117, s6                                // 00000000E364: D1050005 20000D75
	v_mul_f32_e64 v6, -v118, s6                                // 00000000E36C: D1050006 20000D76
	v_mul_f32_e64 v7, -v119, s6                                // 00000000E374: D1050007 20000D77
	v_exp_f32_e32 v4, v4                                       // 00000000E37C: 7E084104
	v_exp_f32_e32 v5, v5                                       // 00000000E380: 7E0A4105
	v_exp_f32_e32 v6, v6                                       // 00000000E384: 7E0C4106
	v_exp_f32_e32 v7, v7                                       // 00000000E388: 7E0E4107
	v_add_f32_e64 v4, v4, 1.0                                  // 00000000E38C: D1010004 0001E504
	v_add_f32_e64 v5, v5, 1.0                                  // 00000000E394: D1010005 0001E505
	v_add_f32_e64 v6, v6, 1.0                                  // 00000000E39C: D1010006 0001E506
	v_add_f32_e64 v7, v7, 1.0                                  // 00000000E3A4: D1010007 0001E507
	v_rcp_f32_e32 v4, v4                                       // 00000000E3AC: 7E084504
	v_rcp_f32_e32 v5, v5                                       // 00000000E3B0: 7E0A4505
	v_rcp_f32_e32 v6, v6                                       // 00000000E3B4: 7E0C4506
	v_rcp_f32_e32 v7, v7                                       // 00000000E3B8: 7E0E4507
	v_mul_f32_e32 v116, v116, v4                               // 00000000E3BC: 0AE80974
	v_mul_f32_e32 v117, v117, v5                               // 00000000E3C0: 0AEA0B75
	v_mul_f32_e32 v118, v118, v6                               // 00000000E3C4: 0AEC0D76
	v_mul_f32_e32 v119, v119, v7                               // 00000000E3C8: 0AEE0F77
	v_mul_f32_e32 v116, v116, v180                             // 00000000E3CC: 0AE96974
	v_mul_f32_e32 v117, v117, v181                             // 00000000E3D0: 0AEB6B75
	v_mul_f32_e32 v118, v118, v182                             // 00000000E3D4: 0AED6D76
	v_mul_f32_e32 v119, v119, v183                             // 00000000E3D8: 0AEF6F77
	v_mul_f32_e64 v4, -v120, s6                                // 00000000E3DC: D1050004 20000D78
	v_mul_f32_e64 v5, -v121, s6                                // 00000000E3E4: D1050005 20000D79
	v_mul_f32_e64 v6, -v122, s6                                // 00000000E3EC: D1050006 20000D7A
	v_mul_f32_e64 v7, -v123, s6                                // 00000000E3F4: D1050007 20000D7B
	v_exp_f32_e32 v4, v4                                       // 00000000E3FC: 7E084104
	v_exp_f32_e32 v5, v5                                       // 00000000E400: 7E0A4105
	v_exp_f32_e32 v6, v6                                       // 00000000E404: 7E0C4106
	v_exp_f32_e32 v7, v7                                       // 00000000E408: 7E0E4107
	v_add_f32_e64 v4, v4, 1.0                                  // 00000000E40C: D1010004 0001E504
	v_add_f32_e64 v5, v5, 1.0                                  // 00000000E414: D1010005 0001E505
	v_add_f32_e64 v6, v6, 1.0                                  // 00000000E41C: D1010006 0001E506
	v_add_f32_e64 v7, v7, 1.0                                  // 00000000E424: D1010007 0001E507
	v_rcp_f32_e32 v4, v4                                       // 00000000E42C: 7E084504
	v_rcp_f32_e32 v5, v5                                       // 00000000E430: 7E0A4505
	v_rcp_f32_e32 v6, v6                                       // 00000000E434: 7E0C4506
	v_rcp_f32_e32 v7, v7                                       // 00000000E438: 7E0E4507
	v_mul_f32_e32 v120, v120, v4                               // 00000000E43C: 0AF00978
	v_mul_f32_e32 v121, v121, v5                               // 00000000E440: 0AF20B79
	v_mul_f32_e32 v122, v122, v6                               // 00000000E444: 0AF40D7A
	v_mul_f32_e32 v123, v123, v7                               // 00000000E448: 0AF60F7B
	v_mul_f32_e32 v120, v120, v184                             // 00000000E44C: 0AF17178
	v_mul_f32_e32 v121, v121, v185                             // 00000000E450: 0AF37379
	v_mul_f32_e32 v122, v122, v186                             // 00000000E454: 0AF5757A
	v_mul_f32_e32 v123, v123, v187                             // 00000000E458: 0AF7777B
	v_mul_f32_e64 v4, -v124, s6                                // 00000000E45C: D1050004 20000D7C
	v_mul_f32_e64 v5, -v125, s6                                // 00000000E464: D1050005 20000D7D
	v_mul_f32_e64 v6, -v126, s6                                // 00000000E46C: D1050006 20000D7E
	v_mul_f32_e64 v7, -v127, s6                                // 00000000E474: D1050007 20000D7F
	v_exp_f32_e32 v4, v4                                       // 00000000E47C: 7E084104
	v_exp_f32_e32 v5, v5                                       // 00000000E480: 7E0A4105
	v_exp_f32_e32 v6, v6                                       // 00000000E484: 7E0C4106
	v_exp_f32_e32 v7, v7                                       // 00000000E488: 7E0E4107
	v_add_f32_e64 v4, v4, 1.0                                  // 00000000E48C: D1010004 0001E504
	v_add_f32_e64 v5, v5, 1.0                                  // 00000000E494: D1010005 0001E505
	v_add_f32_e64 v6, v6, 1.0                                  // 00000000E49C: D1010006 0001E506
	v_add_f32_e64 v7, v7, 1.0                                  // 00000000E4A4: D1010007 0001E507
	v_rcp_f32_e32 v4, v4                                       // 00000000E4AC: 7E084504
	v_rcp_f32_e32 v5, v5                                       // 00000000E4B0: 7E0A4505
	v_rcp_f32_e32 v6, v6                                       // 00000000E4B4: 7E0C4506
	v_rcp_f32_e32 v7, v7                                       // 00000000E4B8: 7E0E4507
	v_mul_f32_e32 v124, v124, v4                               // 00000000E4BC: 0AF8097C
	v_mul_f32_e32 v125, v125, v5                               // 00000000E4C0: 0AFA0B7D
	v_mul_f32_e32 v126, v126, v6                               // 00000000E4C4: 0AFC0D7E
	v_mul_f32_e32 v127, v127, v7                               // 00000000E4C8: 0AFE0F7F
	v_mul_f32_e32 v124, v124, v188                             // 00000000E4CC: 0AF9797C
	v_mul_f32_e32 v125, v125, v189                             // 00000000E4D0: 0AFB7B7D
	v_mul_f32_e32 v126, v126, v190                             // 00000000E4D4: 0AFD7D7E
	v_mul_f32_e32 v127, v127, v191                             // 00000000E4D8: 0AFF7F7F
	v_mul_f32_e64 v4, -v128, s6                                // 00000000E4DC: D1050004 20000D80
	v_mul_f32_e64 v5, -v129, s6                                // 00000000E4E4: D1050005 20000D81
	v_mul_f32_e64 v6, -v130, s6                                // 00000000E4EC: D1050006 20000D82
	v_mul_f32_e64 v7, -v131, s6                                // 00000000E4F4: D1050007 20000D83
	v_exp_f32_e32 v4, v4                                       // 00000000E4FC: 7E084104
	v_exp_f32_e32 v5, v5                                       // 00000000E500: 7E0A4105
	v_exp_f32_e32 v6, v6                                       // 00000000E504: 7E0C4106
	v_exp_f32_e32 v7, v7                                       // 00000000E508: 7E0E4107
	v_add_f32_e64 v4, v4, 1.0                                  // 00000000E50C: D1010004 0001E504
	v_add_f32_e64 v5, v5, 1.0                                  // 00000000E514: D1010005 0001E505
	v_add_f32_e64 v6, v6, 1.0                                  // 00000000E51C: D1010006 0001E506
	v_add_f32_e64 v7, v7, 1.0                                  // 00000000E524: D1010007 0001E507
	v_rcp_f32_e32 v4, v4                                       // 00000000E52C: 7E084504
	v_rcp_f32_e32 v5, v5                                       // 00000000E530: 7E0A4505
	v_rcp_f32_e32 v6, v6                                       // 00000000E534: 7E0C4506
	v_rcp_f32_e32 v7, v7                                       // 00000000E538: 7E0E4507
	v_mul_f32_e32 v128, v128, v4                               // 00000000E53C: 0B000980
	v_mul_f32_e32 v129, v129, v5                               // 00000000E540: 0B020B81
	v_mul_f32_e32 v130, v130, v6                               // 00000000E544: 0B040D82
	v_mul_f32_e32 v131, v131, v7                               // 00000000E548: 0B060F83
	v_mul_f32_e32 v128, v128, v192                             // 00000000E54C: 0B018180
	v_mul_f32_e32 v129, v129, v193                             // 00000000E550: 0B038381
	v_mul_f32_e32 v130, v130, v194                             // 00000000E554: 0B058582
	v_mul_f32_e32 v131, v131, v195                             // 00000000E558: 0B078783
	v_mul_f32_e64 v4, -v132, s6                                // 00000000E55C: D1050004 20000D84
	v_mul_f32_e64 v5, -v133, s6                                // 00000000E564: D1050005 20000D85
	v_mul_f32_e64 v6, -v134, s6                                // 00000000E56C: D1050006 20000D86
	v_mul_f32_e64 v7, -v135, s6                                // 00000000E574: D1050007 20000D87
	v_exp_f32_e32 v4, v4                                       // 00000000E57C: 7E084104
	v_exp_f32_e32 v5, v5                                       // 00000000E580: 7E0A4105
	v_exp_f32_e32 v6, v6                                       // 00000000E584: 7E0C4106
	v_exp_f32_e32 v7, v7                                       // 00000000E588: 7E0E4107
	v_add_f32_e64 v4, v4, 1.0                                  // 00000000E58C: D1010004 0001E504
	v_add_f32_e64 v5, v5, 1.0                                  // 00000000E594: D1010005 0001E505
	v_add_f32_e64 v6, v6, 1.0                                  // 00000000E59C: D1010006 0001E506
	v_add_f32_e64 v7, v7, 1.0                                  // 00000000E5A4: D1010007 0001E507
	v_rcp_f32_e32 v4, v4                                       // 00000000E5AC: 7E084504
	v_rcp_f32_e32 v5, v5                                       // 00000000E5B0: 7E0A4505
	v_rcp_f32_e32 v6, v6                                       // 00000000E5B4: 7E0C4506
	v_rcp_f32_e32 v7, v7                                       // 00000000E5B8: 7E0E4507
	v_mul_f32_e32 v132, v132, v4                               // 00000000E5BC: 0B080984
	v_mul_f32_e32 v133, v133, v5                               // 00000000E5C0: 0B0A0B85
	v_mul_f32_e32 v134, v134, v6                               // 00000000E5C4: 0B0C0D86
	v_mul_f32_e32 v135, v135, v7                               // 00000000E5C8: 0B0E0F87
	v_mul_f32_e32 v132, v132, v196                             // 00000000E5CC: 0B098984
	v_mul_f32_e32 v133, v133, v197                             // 00000000E5D0: 0B0B8B85
	v_mul_f32_e32 v134, v134, v198                             // 00000000E5D4: 0B0D8D86
	v_mul_f32_e32 v135, v135, v199                             // 00000000E5D8: 0B0F8F87
	v_mul_f32_e64 v4, -v136, s6                                // 00000000E5DC: D1050004 20000D88
	v_mul_f32_e64 v5, -v137, s6                                // 00000000E5E4: D1050005 20000D89
	v_mul_f32_e64 v6, -v138, s6                                // 00000000E5EC: D1050006 20000D8A
	v_mul_f32_e64 v7, -v139, s6                                // 00000000E5F4: D1050007 20000D8B
	v_exp_f32_e32 v4, v4                                       // 00000000E5FC: 7E084104
	v_exp_f32_e32 v5, v5                                       // 00000000E600: 7E0A4105
	v_exp_f32_e32 v6, v6                                       // 00000000E604: 7E0C4106
	v_exp_f32_e32 v7, v7                                       // 00000000E608: 7E0E4107
	v_add_f32_e64 v4, v4, 1.0                                  // 00000000E60C: D1010004 0001E504
	v_add_f32_e64 v5, v5, 1.0                                  // 00000000E614: D1010005 0001E505
	v_add_f32_e64 v6, v6, 1.0                                  // 00000000E61C: D1010006 0001E506
	v_add_f32_e64 v7, v7, 1.0                                  // 00000000E624: D1010007 0001E507
	v_rcp_f32_e32 v4, v4                                       // 00000000E62C: 7E084504
	v_rcp_f32_e32 v5, v5                                       // 00000000E630: 7E0A4505
	v_rcp_f32_e32 v6, v6                                       // 00000000E634: 7E0C4506
	v_rcp_f32_e32 v7, v7                                       // 00000000E638: 7E0E4507
	v_mul_f32_e32 v136, v136, v4                               // 00000000E63C: 0B100988
	v_mul_f32_e32 v137, v137, v5                               // 00000000E640: 0B120B89
	v_mul_f32_e32 v138, v138, v6                               // 00000000E644: 0B140D8A
	v_mul_f32_e32 v139, v139, v7                               // 00000000E648: 0B160F8B
	v_mul_f32_e32 v136, v136, v200                             // 00000000E64C: 0B119188
	v_mul_f32_e32 v137, v137, v201                             // 00000000E650: 0B139389
	v_mul_f32_e32 v138, v138, v202                             // 00000000E654: 0B15958A
	v_mul_f32_e32 v139, v139, v203                             // 00000000E658: 0B17978B
	v_mul_f32_e64 v4, -v140, s6                                // 00000000E65C: D1050004 20000D8C
	v_mul_f32_e64 v5, -v141, s6                                // 00000000E664: D1050005 20000D8D
	v_mul_f32_e64 v6, -v142, s6                                // 00000000E66C: D1050006 20000D8E
	v_mul_f32_e64 v7, -v143, s6                                // 00000000E674: D1050007 20000D8F
	v_exp_f32_e32 v4, v4                                       // 00000000E67C: 7E084104
	v_exp_f32_e32 v5, v5                                       // 00000000E680: 7E0A4105
	v_exp_f32_e32 v6, v6                                       // 00000000E684: 7E0C4106
	v_exp_f32_e32 v7, v7                                       // 00000000E688: 7E0E4107
	v_add_f32_e64 v4, v4, 1.0                                  // 00000000E68C: D1010004 0001E504
	v_add_f32_e64 v5, v5, 1.0                                  // 00000000E694: D1010005 0001E505
	v_add_f32_e64 v6, v6, 1.0                                  // 00000000E69C: D1010006 0001E506
	v_add_f32_e64 v7, v7, 1.0                                  // 00000000E6A4: D1010007 0001E507
	v_rcp_f32_e32 v4, v4                                       // 00000000E6AC: 7E084504
	v_rcp_f32_e32 v5, v5                                       // 00000000E6B0: 7E0A4505
	v_rcp_f32_e32 v6, v6                                       // 00000000E6B4: 7E0C4506
	v_rcp_f32_e32 v7, v7                                       // 00000000E6B8: 7E0E4507
	v_mul_f32_e32 v140, v140, v4                               // 00000000E6BC: 0B18098C
	v_mul_f32_e32 v141, v141, v5                               // 00000000E6C0: 0B1A0B8D
	v_mul_f32_e32 v142, v142, v6                               // 00000000E6C4: 0B1C0D8E
	v_mul_f32_e32 v143, v143, v7                               // 00000000E6C8: 0B1E0F8F
	v_mul_f32_e32 v140, v140, v204                             // 00000000E6CC: 0B19998C
	v_mul_f32_e32 v141, v141, v205                             // 00000000E6D0: 0B1B9B8D
	v_mul_f32_e32 v142, v142, v206                             // 00000000E6D4: 0B1D9D8E
	v_mul_f32_e32 v143, v143, v207                             // 00000000E6D8: 0B1F9F8F

000000000000e6dc <label_2F3A>:
	v_cmp_u_f32_e64 s[46:47], v80, v80                         // 00000000E6DC: D048002E 0002A150
	v_add3_u32 v16, v80, v19, 1                                // 00000000E6E4: D1FF0010 02062750
	v_cndmask_b32_e64 v4, v16, v18, s[46:47]                   // 00000000E6EC: D1000004 00BA2510
	v_cmp_u_f32_e64 s[46:47], v81, v81                         // 00000000E6F4: D048002E 0002A351
	v_add3_u32 v16, v81, v19, 1                                // 00000000E6FC: D1FF0010 02062751
	v_cndmask_b32_e64 v5, v16, v18, s[46:47]                   // 00000000E704: D1000005 00BA2510
	v_perm_b32 v80, v5, v4, s52                                // 00000000E70C: D1ED0050 00D20905
	v_cmp_u_f32_e64 s[46:47], v82, v82                         // 00000000E714: D048002E 0002A552
	v_add3_u32 v16, v82, v19, 1                                // 00000000E71C: D1FF0010 02062752
	v_cndmask_b32_e64 v4, v16, v18, s[46:47]                   // 00000000E724: D1000004 00BA2510
	v_cmp_u_f32_e64 s[46:47], v83, v83                         // 00000000E72C: D048002E 0002A753
	v_add3_u32 v16, v83, v19, 1                                // 00000000E734: D1FF0010 02062753
	v_cndmask_b32_e64 v5, v16, v18, s[46:47]                   // 00000000E73C: D1000005 00BA2510
	v_perm_b32 v81, v5, v4, s52                                // 00000000E744: D1ED0051 00D20905
	v_cmp_u_f32_e64 s[46:47], v84, v84                         // 00000000E74C: D048002E 0002A954
	v_add3_u32 v16, v84, v19, 1                                // 00000000E754: D1FF0010 02062754
	v_cndmask_b32_e64 v4, v16, v18, s[46:47]                   // 00000000E75C: D1000004 00BA2510
	v_cmp_u_f32_e64 s[46:47], v85, v85                         // 00000000E764: D048002E 0002AB55
	v_add3_u32 v16, v85, v19, 1                                // 00000000E76C: D1FF0010 02062755
	v_cndmask_b32_e64 v5, v16, v18, s[46:47]                   // 00000000E774: D1000005 00BA2510
	v_perm_b32 v82, v5, v4, s52                                // 00000000E77C: D1ED0052 00D20905
	v_cmp_u_f32_e64 s[46:47], v86, v86                         // 00000000E784: D048002E 0002AD56
	v_add3_u32 v16, v86, v19, 1                                // 00000000E78C: D1FF0010 02062756
	v_cndmask_b32_e64 v4, v16, v18, s[46:47]                   // 00000000E794: D1000004 00BA2510
	v_cmp_u_f32_e64 s[46:47], v87, v87                         // 00000000E79C: D048002E 0002AF57
	v_add3_u32 v16, v87, v19, 1                                // 00000000E7A4: D1FF0010 02062757
	v_cndmask_b32_e64 v5, v16, v18, s[46:47]                   // 00000000E7AC: D1000005 00BA2510
	v_perm_b32 v83, v5, v4, s52                                // 00000000E7B4: D1ED0053 00D20905
	v_cmp_u_f32_e64 s[46:47], v88, v88                         // 00000000E7BC: D048002E 0002B158
	v_add3_u32 v16, v88, v19, 1                                // 00000000E7C4: D1FF0010 02062758
	v_cndmask_b32_e64 v4, v16, v18, s[46:47]                   // 00000000E7CC: D1000004 00BA2510
	v_cmp_u_f32_e64 s[46:47], v89, v89                         // 00000000E7D4: D048002E 0002B359
	v_add3_u32 v16, v89, v19, 1                                // 00000000E7DC: D1FF0010 02062759
	v_cndmask_b32_e64 v5, v16, v18, s[46:47]                   // 00000000E7E4: D1000005 00BA2510
	v_perm_b32 v84, v5, v4, s52                                // 00000000E7EC: D1ED0054 00D20905
	v_cmp_u_f32_e64 s[46:47], v90, v90                         // 00000000E7F4: D048002E 0002B55A
	v_add3_u32 v16, v90, v19, 1                                // 00000000E7FC: D1FF0010 0206275A
	v_cndmask_b32_e64 v4, v16, v18, s[46:47]                   // 00000000E804: D1000004 00BA2510
	v_cmp_u_f32_e64 s[46:47], v91, v91                         // 00000000E80C: D048002E 0002B75B
	v_add3_u32 v16, v91, v19, 1                                // 00000000E814: D1FF0010 0206275B
	v_cndmask_b32_e64 v5, v16, v18, s[46:47]                   // 00000000E81C: D1000005 00BA2510
	v_perm_b32 v85, v5, v4, s52                                // 00000000E824: D1ED0055 00D20905
	v_cmp_u_f32_e64 s[46:47], v92, v92                         // 00000000E82C: D048002E 0002B95C
	v_add3_u32 v16, v92, v19, 1                                // 00000000E834: D1FF0010 0206275C
	v_cndmask_b32_e64 v4, v16, v18, s[46:47]                   // 00000000E83C: D1000004 00BA2510
	v_cmp_u_f32_e64 s[46:47], v93, v93                         // 00000000E844: D048002E 0002BB5D
	v_add3_u32 v16, v93, v19, 1                                // 00000000E84C: D1FF0010 0206275D
	v_cndmask_b32_e64 v5, v16, v18, s[46:47]                   // 00000000E854: D1000005 00BA2510
	v_perm_b32 v86, v5, v4, s52                                // 00000000E85C: D1ED0056 00D20905
	v_cmp_u_f32_e64 s[46:47], v94, v94                         // 00000000E864: D048002E 0002BD5E
	v_add3_u32 v16, v94, v19, 1                                // 00000000E86C: D1FF0010 0206275E
	v_cndmask_b32_e64 v4, v16, v18, s[46:47]                   // 00000000E874: D1000004 00BA2510
	v_cmp_u_f32_e64 s[46:47], v95, v95                         // 00000000E87C: D048002E 0002BF5F
	v_add3_u32 v16, v95, v19, 1                                // 00000000E884: D1FF0010 0206275F
	v_cndmask_b32_e64 v5, v16, v18, s[46:47]                   // 00000000E88C: D1000005 00BA2510
	v_perm_b32 v87, v5, v4, s52                                // 00000000E894: D1ED0057 00D20905
	v_cmp_u_f32_e64 s[46:47], v96, v96                         // 00000000E89C: D048002E 0002C160
	v_add3_u32 v16, v96, v19, 1                                // 00000000E8A4: D1FF0010 02062760
	v_cndmask_b32_e64 v4, v16, v18, s[46:47]                   // 00000000E8AC: D1000004 00BA2510
	v_cmp_u_f32_e64 s[46:47], v97, v97                         // 00000000E8B4: D048002E 0002C361
	v_add3_u32 v16, v97, v19, 1                                // 00000000E8BC: D1FF0010 02062761
	v_cndmask_b32_e64 v5, v16, v18, s[46:47]                   // 00000000E8C4: D1000005 00BA2510
	v_perm_b32 v88, v5, v4, s52                                // 00000000E8CC: D1ED0058 00D20905
	v_cmp_u_f32_e64 s[46:47], v98, v98                         // 00000000E8D4: D048002E 0002C562
	v_add3_u32 v16, v98, v19, 1                                // 00000000E8DC: D1FF0010 02062762
	v_cndmask_b32_e64 v4, v16, v18, s[46:47]                   // 00000000E8E4: D1000004 00BA2510
	v_cmp_u_f32_e64 s[46:47], v99, v99                         // 00000000E8EC: D048002E 0002C763
	v_add3_u32 v16, v99, v19, 1                                // 00000000E8F4: D1FF0010 02062763
	v_cndmask_b32_e64 v5, v16, v18, s[46:47]                   // 00000000E8FC: D1000005 00BA2510
	v_perm_b32 v89, v5, v4, s52                                // 00000000E904: D1ED0059 00D20905
	v_cmp_u_f32_e64 s[46:47], v100, v100                       // 00000000E90C: D048002E 0002C964
	v_add3_u32 v16, v100, v19, 1                               // 00000000E914: D1FF0010 02062764
	v_cndmask_b32_e64 v4, v16, v18, s[46:47]                   // 00000000E91C: D1000004 00BA2510
	v_cmp_u_f32_e64 s[46:47], v101, v101                       // 00000000E924: D048002E 0002CB65
	v_add3_u32 v16, v101, v19, 1                               // 00000000E92C: D1FF0010 02062765
	v_cndmask_b32_e64 v5, v16, v18, s[46:47]                   // 00000000E934: D1000005 00BA2510
	v_perm_b32 v90, v5, v4, s52                                // 00000000E93C: D1ED005A 00D20905
	v_cmp_u_f32_e64 s[46:47], v102, v102                       // 00000000E944: D048002E 0002CD66
	v_add3_u32 v16, v102, v19, 1                               // 00000000E94C: D1FF0010 02062766
	v_cndmask_b32_e64 v4, v16, v18, s[46:47]                   // 00000000E954: D1000004 00BA2510
	v_cmp_u_f32_e64 s[46:47], v103, v103                       // 00000000E95C: D048002E 0002CF67
	v_add3_u32 v16, v103, v19, 1                               // 00000000E964: D1FF0010 02062767
	v_cndmask_b32_e64 v5, v16, v18, s[46:47]                   // 00000000E96C: D1000005 00BA2510
	v_perm_b32 v91, v5, v4, s52                                // 00000000E974: D1ED005B 00D20905
	v_cmp_u_f32_e64 s[46:47], v104, v104                       // 00000000E97C: D048002E 0002D168
	v_add3_u32 v16, v104, v19, 1                               // 00000000E984: D1FF0010 02062768
	v_cndmask_b32_e64 v4, v16, v18, s[46:47]                   // 00000000E98C: D1000004 00BA2510
	v_cmp_u_f32_e64 s[46:47], v105, v105                       // 00000000E994: D048002E 0002D369
	v_add3_u32 v16, v105, v19, 1                               // 00000000E99C: D1FF0010 02062769
	v_cndmask_b32_e64 v5, v16, v18, s[46:47]                   // 00000000E9A4: D1000005 00BA2510
	v_perm_b32 v92, v5, v4, s52                                // 00000000E9AC: D1ED005C 00D20905
	v_cmp_u_f32_e64 s[46:47], v106, v106                       // 00000000E9B4: D048002E 0002D56A
	v_add3_u32 v16, v106, v19, 1                               // 00000000E9BC: D1FF0010 0206276A
	v_cndmask_b32_e64 v4, v16, v18, s[46:47]                   // 00000000E9C4: D1000004 00BA2510
	v_cmp_u_f32_e64 s[46:47], v107, v107                       // 00000000E9CC: D048002E 0002D76B
	v_add3_u32 v16, v107, v19, 1                               // 00000000E9D4: D1FF0010 0206276B
	v_cndmask_b32_e64 v5, v16, v18, s[46:47]                   // 00000000E9DC: D1000005 00BA2510
	v_perm_b32 v93, v5, v4, s52                                // 00000000E9E4: D1ED005D 00D20905
	v_cmp_u_f32_e64 s[46:47], v108, v108                       // 00000000E9EC: D048002E 0002D96C
	v_add3_u32 v16, v108, v19, 1                               // 00000000E9F4: D1FF0010 0206276C
	v_cndmask_b32_e64 v4, v16, v18, s[46:47]                   // 00000000E9FC: D1000004 00BA2510
	v_cmp_u_f32_e64 s[46:47], v109, v109                       // 00000000EA04: D048002E 0002DB6D
	v_add3_u32 v16, v109, v19, 1                               // 00000000EA0C: D1FF0010 0206276D
	v_cndmask_b32_e64 v5, v16, v18, s[46:47]                   // 00000000EA14: D1000005 00BA2510
	v_perm_b32 v94, v5, v4, s52                                // 00000000EA1C: D1ED005E 00D20905
	v_cmp_u_f32_e64 s[46:47], v110, v110                       // 00000000EA24: D048002E 0002DD6E
	v_add3_u32 v16, v110, v19, 1                               // 00000000EA2C: D1FF0010 0206276E
	v_cndmask_b32_e64 v4, v16, v18, s[46:47]                   // 00000000EA34: D1000004 00BA2510
	v_cmp_u_f32_e64 s[46:47], v111, v111                       // 00000000EA3C: D048002E 0002DF6F
	v_add3_u32 v16, v111, v19, 1                               // 00000000EA44: D1FF0010 0206276F
	v_cndmask_b32_e64 v5, v16, v18, s[46:47]                   // 00000000EA4C: D1000005 00BA2510
	v_perm_b32 v95, v5, v4, s52                                // 00000000EA54: D1ED005F 00D20905
	v_cmp_u_f32_e64 s[46:47], v112, v112                       // 00000000EA5C: D048002E 0002E170
	v_add3_u32 v16, v112, v19, 1                               // 00000000EA64: D1FF0010 02062770
	v_cndmask_b32_e64 v4, v16, v18, s[46:47]                   // 00000000EA6C: D1000004 00BA2510
	v_cmp_u_f32_e64 s[46:47], v113, v113                       // 00000000EA74: D048002E 0002E371
	v_add3_u32 v16, v113, v19, 1                               // 00000000EA7C: D1FF0010 02062771
	v_cndmask_b32_e64 v5, v16, v18, s[46:47]                   // 00000000EA84: D1000005 00BA2510
	v_perm_b32 v96, v5, v4, s52                                // 00000000EA8C: D1ED0060 00D20905
	v_cmp_u_f32_e64 s[46:47], v114, v114                       // 00000000EA94: D048002E 0002E572
	v_add3_u32 v16, v114, v19, 1                               // 00000000EA9C: D1FF0010 02062772
	v_cndmask_b32_e64 v4, v16, v18, s[46:47]                   // 00000000EAA4: D1000004 00BA2510
	v_cmp_u_f32_e64 s[46:47], v115, v115                       // 00000000EAAC: D048002E 0002E773
	v_add3_u32 v16, v115, v19, 1                               // 00000000EAB4: D1FF0010 02062773
	v_cndmask_b32_e64 v5, v16, v18, s[46:47]                   // 00000000EABC: D1000005 00BA2510
	v_perm_b32 v97, v5, v4, s52                                // 00000000EAC4: D1ED0061 00D20905
	v_cmp_u_f32_e64 s[46:47], v116, v116                       // 00000000EACC: D048002E 0002E974
	v_add3_u32 v16, v116, v19, 1                               // 00000000EAD4: D1FF0010 02062774
	v_cndmask_b32_e64 v4, v16, v18, s[46:47]                   // 00000000EADC: D1000004 00BA2510
	v_cmp_u_f32_e64 s[46:47], v117, v117                       // 00000000EAE4: D048002E 0002EB75
	v_add3_u32 v16, v117, v19, 1                               // 00000000EAEC: D1FF0010 02062775
	v_cndmask_b32_e64 v5, v16, v18, s[46:47]                   // 00000000EAF4: D1000005 00BA2510
	v_perm_b32 v98, v5, v4, s52                                // 00000000EAFC: D1ED0062 00D20905
	v_cmp_u_f32_e64 s[46:47], v118, v118                       // 00000000EB04: D048002E 0002ED76
	v_add3_u32 v16, v118, v19, 1                               // 00000000EB0C: D1FF0010 02062776
	v_cndmask_b32_e64 v4, v16, v18, s[46:47]                   // 00000000EB14: D1000004 00BA2510
	v_cmp_u_f32_e64 s[46:47], v119, v119                       // 00000000EB1C: D048002E 0002EF77
	v_add3_u32 v16, v119, v19, 1                               // 00000000EB24: D1FF0010 02062777
	v_cndmask_b32_e64 v5, v16, v18, s[46:47]                   // 00000000EB2C: D1000005 00BA2510
	v_perm_b32 v99, v5, v4, s52                                // 00000000EB34: D1ED0063 00D20905
	v_cmp_u_f32_e64 s[46:47], v120, v120                       // 00000000EB3C: D048002E 0002F178
	v_add3_u32 v16, v120, v19, 1                               // 00000000EB44: D1FF0010 02062778
	v_cndmask_b32_e64 v4, v16, v18, s[46:47]                   // 00000000EB4C: D1000004 00BA2510
	v_cmp_u_f32_e64 s[46:47], v121, v121                       // 00000000EB54: D048002E 0002F379
	v_add3_u32 v16, v121, v19, 1                               // 00000000EB5C: D1FF0010 02062779
	v_cndmask_b32_e64 v5, v16, v18, s[46:47]                   // 00000000EB64: D1000005 00BA2510
	v_perm_b32 v100, v5, v4, s52                               // 00000000EB6C: D1ED0064 00D20905
	v_cmp_u_f32_e64 s[46:47], v122, v122                       // 00000000EB74: D048002E 0002F57A
	v_add3_u32 v16, v122, v19, 1                               // 00000000EB7C: D1FF0010 0206277A
	v_cndmask_b32_e64 v4, v16, v18, s[46:47]                   // 00000000EB84: D1000004 00BA2510
	v_cmp_u_f32_e64 s[46:47], v123, v123                       // 00000000EB8C: D048002E 0002F77B
	v_add3_u32 v16, v123, v19, 1                               // 00000000EB94: D1FF0010 0206277B
	v_cndmask_b32_e64 v5, v16, v18, s[46:47]                   // 00000000EB9C: D1000005 00BA2510
	v_perm_b32 v101, v5, v4, s52                               // 00000000EBA4: D1ED0065 00D20905
	v_cmp_u_f32_e64 s[46:47], v124, v124                       // 00000000EBAC: D048002E 0002F97C
	v_add3_u32 v16, v124, v19, 1                               // 00000000EBB4: D1FF0010 0206277C
	v_cndmask_b32_e64 v4, v16, v18, s[46:47]                   // 00000000EBBC: D1000004 00BA2510
	v_cmp_u_f32_e64 s[46:47], v125, v125                       // 00000000EBC4: D048002E 0002FB7D
	v_add3_u32 v16, v125, v19, 1                               // 00000000EBCC: D1FF0010 0206277D
	v_cndmask_b32_e64 v5, v16, v18, s[46:47]                   // 00000000EBD4: D1000005 00BA2510
	v_perm_b32 v102, v5, v4, s52                               // 00000000EBDC: D1ED0066 00D20905
	v_cmp_u_f32_e64 s[46:47], v126, v126                       // 00000000EBE4: D048002E 0002FD7E
	v_add3_u32 v16, v126, v19, 1                               // 00000000EBEC: D1FF0010 0206277E
	v_cndmask_b32_e64 v4, v16, v18, s[46:47]                   // 00000000EBF4: D1000004 00BA2510
	v_cmp_u_f32_e64 s[46:47], v127, v127                       // 00000000EBFC: D048002E 0002FF7F
	v_add3_u32 v16, v127, v19, 1                               // 00000000EC04: D1FF0010 0206277F
	v_cndmask_b32_e64 v5, v16, v18, s[46:47]                   // 00000000EC0C: D1000005 00BA2510
	v_perm_b32 v103, v5, v4, s52                               // 00000000EC14: D1ED0067 00D20905
	v_cmp_u_f32_e64 s[46:47], v128, v128                       // 00000000EC1C: D048002E 00030180
	v_add3_u32 v16, v128, v19, 1                               // 00000000EC24: D1FF0010 02062780
	v_cndmask_b32_e64 v4, v16, v18, s[46:47]                   // 00000000EC2C: D1000004 00BA2510
	v_cmp_u_f32_e64 s[46:47], v129, v129                       // 00000000EC34: D048002E 00030381
	v_add3_u32 v16, v129, v19, 1                               // 00000000EC3C: D1FF0010 02062781
	v_cndmask_b32_e64 v5, v16, v18, s[46:47]                   // 00000000EC44: D1000005 00BA2510
	v_perm_b32 v104, v5, v4, s52                               // 00000000EC4C: D1ED0068 00D20905
	v_cmp_u_f32_e64 s[46:47], v130, v130                       // 00000000EC54: D048002E 00030582
	v_add3_u32 v16, v130, v19, 1                               // 00000000EC5C: D1FF0010 02062782
	v_cndmask_b32_e64 v4, v16, v18, s[46:47]                   // 00000000EC64: D1000004 00BA2510
	v_cmp_u_f32_e64 s[46:47], v131, v131                       // 00000000EC6C: D048002E 00030783
	v_add3_u32 v16, v131, v19, 1                               // 00000000EC74: D1FF0010 02062783
	v_cndmask_b32_e64 v5, v16, v18, s[46:47]                   // 00000000EC7C: D1000005 00BA2510
	v_perm_b32 v105, v5, v4, s52                               // 00000000EC84: D1ED0069 00D20905
	v_cmp_u_f32_e64 s[46:47], v132, v132                       // 00000000EC8C: D048002E 00030984
	v_add3_u32 v16, v132, v19, 1                               // 00000000EC94: D1FF0010 02062784
	v_cndmask_b32_e64 v4, v16, v18, s[46:47]                   // 00000000EC9C: D1000004 00BA2510
	v_cmp_u_f32_e64 s[46:47], v133, v133                       // 00000000ECA4: D048002E 00030B85
	v_add3_u32 v16, v133, v19, 1                               // 00000000ECAC: D1FF0010 02062785
	v_cndmask_b32_e64 v5, v16, v18, s[46:47]                   // 00000000ECB4: D1000005 00BA2510
	v_perm_b32 v106, v5, v4, s52                               // 00000000ECBC: D1ED006A 00D20905
	v_cmp_u_f32_e64 s[46:47], v134, v134                       // 00000000ECC4: D048002E 00030D86
	v_add3_u32 v16, v134, v19, 1                               // 00000000ECCC: D1FF0010 02062786
	v_cndmask_b32_e64 v4, v16, v18, s[46:47]                   // 00000000ECD4: D1000004 00BA2510
	v_cmp_u_f32_e64 s[46:47], v135, v135                       // 00000000ECDC: D048002E 00030F87
	v_add3_u32 v16, v135, v19, 1                               // 00000000ECE4: D1FF0010 02062787
	v_cndmask_b32_e64 v5, v16, v18, s[46:47]                   // 00000000ECEC: D1000005 00BA2510
	v_perm_b32 v107, v5, v4, s52                               // 00000000ECF4: D1ED006B 00D20905
	v_cmp_u_f32_e64 s[46:47], v136, v136                       // 00000000ECFC: D048002E 00031188
	v_add3_u32 v16, v136, v19, 1                               // 00000000ED04: D1FF0010 02062788
	v_cndmask_b32_e64 v4, v16, v18, s[46:47]                   // 00000000ED0C: D1000004 00BA2510
	v_cmp_u_f32_e64 s[46:47], v137, v137                       // 00000000ED14: D048002E 00031389
	v_add3_u32 v16, v137, v19, 1                               // 00000000ED1C: D1FF0010 02062789
	v_cndmask_b32_e64 v5, v16, v18, s[46:47]                   // 00000000ED24: D1000005 00BA2510
	v_perm_b32 v108, v5, v4, s52                               // 00000000ED2C: D1ED006C 00D20905
	v_cmp_u_f32_e64 s[46:47], v138, v138                       // 00000000ED34: D048002E 0003158A
	v_add3_u32 v16, v138, v19, 1                               // 00000000ED3C: D1FF0010 0206278A
	v_cndmask_b32_e64 v4, v16, v18, s[46:47]                   // 00000000ED44: D1000004 00BA2510
	v_cmp_u_f32_e64 s[46:47], v139, v139                       // 00000000ED4C: D048002E 0003178B
	v_add3_u32 v16, v139, v19, 1                               // 00000000ED54: D1FF0010 0206278B
	v_cndmask_b32_e64 v5, v16, v18, s[46:47]                   // 00000000ED5C: D1000005 00BA2510
	v_perm_b32 v109, v5, v4, s52                               // 00000000ED64: D1ED006D 00D20905
	v_cmp_u_f32_e64 s[46:47], v140, v140                       // 00000000ED6C: D048002E 0003198C
	v_add3_u32 v16, v140, v19, 1                               // 00000000ED74: D1FF0010 0206278C
	v_cndmask_b32_e64 v4, v16, v18, s[46:47]                   // 00000000ED7C: D1000004 00BA2510
	v_cmp_u_f32_e64 s[46:47], v141, v141                       // 00000000ED84: D048002E 00031B8D
	v_add3_u32 v16, v141, v19, 1                               // 00000000ED8C: D1FF0010 0206278D
	v_cndmask_b32_e64 v5, v16, v18, s[46:47]                   // 00000000ED94: D1000005 00BA2510
	v_perm_b32 v110, v5, v4, s52                               // 00000000ED9C: D1ED006E 00D20905
	v_cmp_u_f32_e64 s[46:47], v142, v142                       // 00000000EDA4: D048002E 00031D8E
	v_add3_u32 v16, v142, v19, 1                               // 00000000EDAC: D1FF0010 0206278E
	v_cndmask_b32_e64 v4, v16, v18, s[46:47]                   // 00000000EDB4: D1000004 00BA2510
	v_cmp_u_f32_e64 s[46:47], v143, v143                       // 00000000EDBC: D048002E 00031F8F
	v_add3_u32 v16, v143, v19, 1                               // 00000000EDC4: D1FF0010 0206278F
	v_cndmask_b32_e64 v5, v16, v18, s[46:47]                   // 00000000EDCC: D1000005 00BA2510
	v_perm_b32 v111, v5, v4, s52                               // 00000000EDD4: D1ED006F 00D20905
	ds_write_b64 v20, v[80:81]                                 // 00000000EDDC: D89A0000 00005014
	ds_write_b64 v20, v[82:83] offset:4352                     // 00000000EDE4: D89A1100 00005214
	ds_write_b64 v20, v[84:85] offset:8704                     // 00000000EDEC: D89A2200 00005414
	ds_write_b64 v20, v[86:87] offset:13056                    // 00000000EDF4: D89A3300 00005614
	ds_write_b64 v20, v[88:89] offset:17408                    // 00000000EDFC: D89A4400 00005814
	ds_write_b64 v20, v[90:91] offset:21760                    // 00000000EE04: D89A5500 00005A14
	ds_write_b64 v20, v[92:93] offset:26112                    // 00000000EE0C: D89A6600 00005C14
	ds_write_b64 v20, v[94:95] offset:30464                    // 00000000EE14: D89A7700 00005E14
	ds_write_b64 v20, v[96:97] offset:2176                     // 00000000EE1C: D89A0880 00006014
	ds_write_b64 v20, v[98:99] offset:6528                     // 00000000EE24: D89A1980 00006214
	ds_write_b64 v20, v[100:101] offset:10880                  // 00000000EE2C: D89A2A80 00006414
	ds_write_b64 v20, v[102:103] offset:15232                  // 00000000EE34: D89A3B80 00006614
	ds_write_b64 v20, v[104:105] offset:19584                  // 00000000EE3C: D89A4C80 00006814
	ds_write_b64 v20, v[106:107] offset:23936                  // 00000000EE44: D89A5D80 00006A14
	ds_write_b64 v20, v[108:109] offset:28288                  // 00000000EE4C: D89A6E80 00006C14
	ds_write_b64 v20, v[110:111] offset:32640                  // 00000000EE54: D89A7F80 00006E14
	v_lshrrev_b32_e32 v4, 5, v0                                // 00000000EE5C: 20080085
	v_xor_b32_e32 v5, 1, v4                                    // 00000000EE60: 2A0A0881
	s_mul_i32 s60, s65, 2                                      // 00000000EE64: 923C8241
	s_cmp_eq_u32 s88, 0                                        // 00000000EE68: BF068058
	s_cselect_b32 s61, 1, 4                                    // 00000000EE6C: 853D8481
	s_mul_i32 s60, s61, s60                                    // 00000000EE70: 923C3C3D
	v_readlane_b32 s82, v3, 0                                  // 00000000EE74: D2890052 00010103
	s_lshr_b32 s61, s82, 24                                    // 00000000EE7C: 8F3D9852
	s_and_b32 s82, s82, 0xffffff                               // 00000000EE80: 8652FF52 00FFFFFF
	s_mul_i32 s82, s82, s71                                    // 00000000EE88: 92524752
	s_mul_i32 s61, s60, s61                                    // 00000000EE8C: 923D3D3C
	s_add_u32 s82, s82, s61                                    // 00000000EE90: 80523D52
	v_mul_lo_u32 v6, v5, s82                                   // 00000000EE94: D2850006 0000A505
	v_readlane_b32 s82, v3, 1                                  // 00000000EE9C: D2890052 00010303
	s_lshr_b32 s61, s82, 24                                    // 00000000EEA4: 8F3D9852
	s_and_b32 s82, s82, 0xffffff                               // 00000000EEA8: 8652FF52 00FFFFFF
	s_mul_i32 s82, s82, s71                                    // 00000000EEB0: 92524752
	s_mul_i32 s61, s60, s61                                    // 00000000EEB4: 923D3D3C
	s_add_u32 s82, s82, s61                                    // 00000000EEB8: 80523D52
	v_mul_lo_u32 v7, v4, s82                                   // 00000000EEBC: D2850007 0000A504
	v_add_u32_e32 v62, v6, v7                                  // 00000000EEC4: 687C0F06
	v_readlane_b32 s82, v3, 2                                  // 00000000EEC8: D2890052 00010503
	s_lshr_b32 s61, s82, 24                                    // 00000000EED0: 8F3D9852
	s_and_b32 s82, s82, 0xffffff                               // 00000000EED4: 8652FF52 00FFFFFF
	s_mul_i32 s82, s82, s71                                    // 00000000EEDC: 92524752
	s_mul_i32 s61, s60, s61                                    // 00000000EEE0: 923D3D3C
	s_add_u32 s82, s82, s61                                    // 00000000EEE4: 80523D52
	v_mul_lo_u32 v6, v5, s82                                   // 00000000EEE8: D2850006 0000A505
	v_readlane_b32 s82, v3, 3                                  // 00000000EEF0: D2890052 00010703
	s_lshr_b32 s61, s82, 24                                    // 00000000EEF8: 8F3D9852
	s_and_b32 s82, s82, 0xffffff                               // 00000000EEFC: 8652FF52 00FFFFFF
	s_mul_i32 s82, s82, s71                                    // 00000000EF04: 92524752
	s_mul_i32 s61, s60, s61                                    // 00000000EF08: 923D3D3C
	s_add_u32 s82, s82, s61                                    // 00000000EF0C: 80523D52
	v_mul_lo_u32 v7, v4, s82                                   // 00000000EF10: D2850007 0000A504
	v_add_u32_e32 v63, v6, v7                                  // 00000000EF18: 687E0F06
	v_readlane_b32 s82, v3, 4                                  // 00000000EF1C: D2890052 00010903
	s_lshr_b32 s61, s82, 24                                    // 00000000EF24: 8F3D9852
	s_and_b32 s82, s82, 0xffffff                               // 00000000EF28: 8652FF52 00FFFFFF
	s_mul_i32 s82, s82, s71                                    // 00000000EF30: 92524752
	s_mul_i32 s61, s60, s61                                    // 00000000EF34: 923D3D3C
	s_add_u32 s82, s82, s61                                    // 00000000EF38: 80523D52
	v_mul_lo_u32 v6, v5, s82                                   // 00000000EF3C: D2850006 0000A505
	v_readlane_b32 s82, v3, 5                                  // 00000000EF44: D2890052 00010B03
	s_lshr_b32 s61, s82, 24                                    // 00000000EF4C: 8F3D9852
	s_and_b32 s82, s82, 0xffffff                               // 00000000EF50: 8652FF52 00FFFFFF
	s_mul_i32 s82, s82, s71                                    // 00000000EF58: 92524752
	s_mul_i32 s61, s60, s61                                    // 00000000EF5C: 923D3D3C
	s_add_u32 s82, s82, s61                                    // 00000000EF60: 80523D52
	v_mul_lo_u32 v7, v4, s82                                   // 00000000EF64: D2850007 0000A504
	v_add_u32_e32 v64, v6, v7                                  // 00000000EF6C: 68800F06
	v_readlane_b32 s82, v3, 6                                  // 00000000EF70: D2890052 00010D03
	s_lshr_b32 s61, s82, 24                                    // 00000000EF78: 8F3D9852
	s_and_b32 s82, s82, 0xffffff                               // 00000000EF7C: 8652FF52 00FFFFFF
	s_mul_i32 s82, s82, s71                                    // 00000000EF84: 92524752
	s_mul_i32 s61, s60, s61                                    // 00000000EF88: 923D3D3C
	s_add_u32 s82, s82, s61                                    // 00000000EF8C: 80523D52
	v_mul_lo_u32 v6, v5, s82                                   // 00000000EF90: D2850006 0000A505
	v_readlane_b32 s82, v3, 7                                  // 00000000EF98: D2890052 00010F03
	s_lshr_b32 s61, s82, 24                                    // 00000000EFA0: 8F3D9852
	s_and_b32 s82, s82, 0xffffff                               // 00000000EFA4: 8652FF52 00FFFFFF
	s_mul_i32 s82, s82, s71                                    // 00000000EFAC: 92524752
	s_mul_i32 s61, s60, s61                                    // 00000000EFB0: 923D3D3C
	s_add_u32 s82, s82, s61                                    // 00000000EFB4: 80523D52
	v_mul_lo_u32 v7, v4, s82                                   // 00000000EFB8: D2850007 0000A504
	v_add_u32_e32 v65, v6, v7                                  // 00000000EFC0: 68820F06
	v_readlane_b32 s82, v3, 8                                  // 00000000EFC4: D2890052 00011103
	s_lshr_b32 s61, s82, 24                                    // 00000000EFCC: 8F3D9852
	s_and_b32 s82, s82, 0xffffff                               // 00000000EFD0: 8652FF52 00FFFFFF
	s_mul_i32 s82, s82, s71                                    // 00000000EFD8: 92524752
	s_mul_i32 s61, s60, s61                                    // 00000000EFDC: 923D3D3C
	s_add_u32 s82, s82, s61                                    // 00000000EFE0: 80523D52
	v_mul_lo_u32 v6, v5, s82                                   // 00000000EFE4: D2850006 0000A505
	v_readlane_b32 s82, v3, 9                                  // 00000000EFEC: D2890052 00011303
	s_lshr_b32 s61, s82, 24                                    // 00000000EFF4: 8F3D9852
	s_and_b32 s82, s82, 0xffffff                               // 00000000EFF8: 8652FF52 00FFFFFF
	s_mul_i32 s82, s82, s71                                    // 00000000F000: 92524752
	s_mul_i32 s61, s60, s61                                    // 00000000F004: 923D3D3C
	s_add_u32 s82, s82, s61                                    // 00000000F008: 80523D52
	v_mul_lo_u32 v7, v4, s82                                   // 00000000F00C: D2850007 0000A504
	v_add_u32_e32 v66, v6, v7                                  // 00000000F014: 68840F06
	v_readlane_b32 s82, v3, 10                                 // 00000000F018: D2890052 00011503
	s_lshr_b32 s61, s82, 24                                    // 00000000F020: 8F3D9852
	s_and_b32 s82, s82, 0xffffff                               // 00000000F024: 8652FF52 00FFFFFF
	s_mul_i32 s82, s82, s71                                    // 00000000F02C: 92524752
	s_mul_i32 s61, s60, s61                                    // 00000000F030: 923D3D3C
	s_add_u32 s82, s82, s61                                    // 00000000F034: 80523D52
	v_mul_lo_u32 v6, v5, s82                                   // 00000000F038: D2850006 0000A505
	v_readlane_b32 s82, v3, 11                                 // 00000000F040: D2890052 00011703
	s_lshr_b32 s61, s82, 24                                    // 00000000F048: 8F3D9852
	s_and_b32 s82, s82, 0xffffff                               // 00000000F04C: 8652FF52 00FFFFFF
	s_mul_i32 s82, s82, s71                                    // 00000000F054: 92524752
	s_mul_i32 s61, s60, s61                                    // 00000000F058: 923D3D3C
	s_add_u32 s82, s82, s61                                    // 00000000F05C: 80523D52
	v_mul_lo_u32 v7, v4, s82                                   // 00000000F060: D2850007 0000A504
	v_add_u32_e32 v67, v6, v7                                  // 00000000F068: 68860F06
	v_readlane_b32 s82, v3, 12                                 // 00000000F06C: D2890052 00011903
	s_lshr_b32 s61, s82, 24                                    // 00000000F074: 8F3D9852
	s_and_b32 s82, s82, 0xffffff                               // 00000000F078: 8652FF52 00FFFFFF
	s_mul_i32 s82, s82, s71                                    // 00000000F080: 92524752
	s_mul_i32 s61, s60, s61                                    // 00000000F084: 923D3D3C
	s_add_u32 s82, s82, s61                                    // 00000000F088: 80523D52
	v_mul_lo_u32 v6, v5, s82                                   // 00000000F08C: D2850006 0000A505
	v_readlane_b32 s82, v3, 13                                 // 00000000F094: D2890052 00011B03
	s_lshr_b32 s61, s82, 24                                    // 00000000F09C: 8F3D9852
	s_and_b32 s82, s82, 0xffffff                               // 00000000F0A0: 8652FF52 00FFFFFF
	s_mul_i32 s82, s82, s71                                    // 00000000F0A8: 92524752
	s_mul_i32 s61, s60, s61                                    // 00000000F0AC: 923D3D3C
	s_add_u32 s82, s82, s61                                    // 00000000F0B0: 80523D52
	v_mul_lo_u32 v7, v4, s82                                   // 00000000F0B4: D2850007 0000A504
	v_add_u32_e32 v68, v6, v7                                  // 00000000F0BC: 68880F06
	v_readlane_b32 s82, v3, 14                                 // 00000000F0C0: D2890052 00011D03
	s_lshr_b32 s61, s82, 24                                    // 00000000F0C8: 8F3D9852
	s_and_b32 s82, s82, 0xffffff                               // 00000000F0CC: 8652FF52 00FFFFFF
	s_mul_i32 s82, s82, s71                                    // 00000000F0D4: 92524752
	s_mul_i32 s61, s60, s61                                    // 00000000F0D8: 923D3D3C
	s_add_u32 s82, s82, s61                                    // 00000000F0DC: 80523D52
	v_mul_lo_u32 v6, v5, s82                                   // 00000000F0E0: D2850006 0000A505
	v_readlane_b32 s82, v3, 15                                 // 00000000F0E8: D2890052 00011F03
	s_lshr_b32 s61, s82, 24                                    // 00000000F0F0: 8F3D9852
	s_and_b32 s82, s82, 0xffffff                               // 00000000F0F4: 8652FF52 00FFFFFF
	s_mul_i32 s82, s82, s71                                    // 00000000F0FC: 92524752
	s_mul_i32 s61, s60, s61                                    // 00000000F100: 923D3D3C
	s_add_u32 s82, s82, s61                                    // 00000000F104: 80523D52
	v_mul_lo_u32 v7, v4, s82                                   // 00000000F108: D2850007 0000A504
	v_add_u32_e32 v69, v6, v7                                  // 00000000F110: 688A0F06
	v_readlane_b32 s82, v3, 16                                 // 00000000F114: D2890052 00012103
	s_lshr_b32 s61, s82, 24                                    // 00000000F11C: 8F3D9852
	s_and_b32 s82, s82, 0xffffff                               // 00000000F120: 8652FF52 00FFFFFF
	s_mul_i32 s82, s82, s71                                    // 00000000F128: 92524752
	s_mul_i32 s61, s60, s61                                    // 00000000F12C: 923D3D3C
	s_add_u32 s82, s82, s61                                    // 00000000F130: 80523D52
	v_mul_lo_u32 v6, v5, s82                                   // 00000000F134: D2850006 0000A505
	v_readlane_b32 s82, v3, 17                                 // 00000000F13C: D2890052 00012303
	s_lshr_b32 s61, s82, 24                                    // 00000000F144: 8F3D9852
	s_and_b32 s82, s82, 0xffffff                               // 00000000F148: 8652FF52 00FFFFFF
	s_mul_i32 s82, s82, s71                                    // 00000000F150: 92524752
	s_mul_i32 s61, s60, s61                                    // 00000000F154: 923D3D3C
	s_add_u32 s82, s82, s61                                    // 00000000F158: 80523D52
	v_mul_lo_u32 v7, v4, s82                                   // 00000000F15C: D2850007 0000A504
	v_add_u32_e32 v70, v6, v7                                  // 00000000F164: 688C0F06
	v_readlane_b32 s82, v3, 18                                 // 00000000F168: D2890052 00012503
	s_lshr_b32 s61, s82, 24                                    // 00000000F170: 8F3D9852
	s_and_b32 s82, s82, 0xffffff                               // 00000000F174: 8652FF52 00FFFFFF
	s_mul_i32 s82, s82, s71                                    // 00000000F17C: 92524752
	s_mul_i32 s61, s60, s61                                    // 00000000F180: 923D3D3C
	s_add_u32 s82, s82, s61                                    // 00000000F184: 80523D52
	v_mul_lo_u32 v6, v5, s82                                   // 00000000F188: D2850006 0000A505
	v_readlane_b32 s82, v3, 19                                 // 00000000F190: D2890052 00012703
	s_lshr_b32 s61, s82, 24                                    // 00000000F198: 8F3D9852
	s_and_b32 s82, s82, 0xffffff                               // 00000000F19C: 8652FF52 00FFFFFF
	s_mul_i32 s82, s82, s71                                    // 00000000F1A4: 92524752
	s_mul_i32 s61, s60, s61                                    // 00000000F1A8: 923D3D3C
	s_add_u32 s82, s82, s61                                    // 00000000F1AC: 80523D52
	v_mul_lo_u32 v7, v4, s82                                   // 00000000F1B0: D2850007 0000A504
	v_add_u32_e32 v71, v6, v7                                  // 00000000F1B8: 688E0F06
	v_readlane_b32 s82, v3, 20                                 // 00000000F1BC: D2890052 00012903
	s_lshr_b32 s61, s82, 24                                    // 00000000F1C4: 8F3D9852
	s_and_b32 s82, s82, 0xffffff                               // 00000000F1C8: 8652FF52 00FFFFFF
	s_mul_i32 s82, s82, s71                                    // 00000000F1D0: 92524752
	s_mul_i32 s61, s60, s61                                    // 00000000F1D4: 923D3D3C
	s_add_u32 s82, s82, s61                                    // 00000000F1D8: 80523D52
	v_mul_lo_u32 v6, v5, s82                                   // 00000000F1DC: D2850006 0000A505
	v_readlane_b32 s82, v3, 21                                 // 00000000F1E4: D2890052 00012B03
	s_lshr_b32 s61, s82, 24                                    // 00000000F1EC: 8F3D9852
	s_and_b32 s82, s82, 0xffffff                               // 00000000F1F0: 8652FF52 00FFFFFF
	s_mul_i32 s82, s82, s71                                    // 00000000F1F8: 92524752
	s_mul_i32 s61, s60, s61                                    // 00000000F1FC: 923D3D3C
	s_add_u32 s82, s82, s61                                    // 00000000F200: 80523D52
	v_mul_lo_u32 v7, v4, s82                                   // 00000000F204: D2850007 0000A504
	v_add_u32_e32 v72, v6, v7                                  // 00000000F20C: 68900F06
	v_readlane_b32 s82, v3, 22                                 // 00000000F210: D2890052 00012D03
	s_lshr_b32 s61, s82, 24                                    // 00000000F218: 8F3D9852
	s_and_b32 s82, s82, 0xffffff                               // 00000000F21C: 8652FF52 00FFFFFF
	s_mul_i32 s82, s82, s71                                    // 00000000F224: 92524752
	s_mul_i32 s61, s60, s61                                    // 00000000F228: 923D3D3C
	s_add_u32 s82, s82, s61                                    // 00000000F22C: 80523D52
	v_mul_lo_u32 v6, v5, s82                                   // 00000000F230: D2850006 0000A505
	v_readlane_b32 s82, v3, 23                                 // 00000000F238: D2890052 00012F03
	s_lshr_b32 s61, s82, 24                                    // 00000000F240: 8F3D9852
	s_and_b32 s82, s82, 0xffffff                               // 00000000F244: 8652FF52 00FFFFFF
	s_mul_i32 s82, s82, s71                                    // 00000000F24C: 92524752
	s_mul_i32 s61, s60, s61                                    // 00000000F250: 923D3D3C
	s_add_u32 s82, s82, s61                                    // 00000000F254: 80523D52
	v_mul_lo_u32 v7, v4, s82                                   // 00000000F258: D2850007 0000A504
	v_add_u32_e32 v73, v6, v7                                  // 00000000F260: 68920F06
	v_readlane_b32 s82, v3, 24                                 // 00000000F264: D2890052 00013103
	s_lshr_b32 s61, s82, 24                                    // 00000000F26C: 8F3D9852
	s_and_b32 s82, s82, 0xffffff                               // 00000000F270: 8652FF52 00FFFFFF
	s_mul_i32 s82, s82, s71                                    // 00000000F278: 92524752
	s_mul_i32 s61, s60, s61                                    // 00000000F27C: 923D3D3C
	s_add_u32 s82, s82, s61                                    // 00000000F280: 80523D52
	v_mul_lo_u32 v6, v5, s82                                   // 00000000F284: D2850006 0000A505
	v_readlane_b32 s82, v3, 25                                 // 00000000F28C: D2890052 00013303
	s_lshr_b32 s61, s82, 24                                    // 00000000F294: 8F3D9852
	s_and_b32 s82, s82, 0xffffff                               // 00000000F298: 8652FF52 00FFFFFF
	s_mul_i32 s82, s82, s71                                    // 00000000F2A0: 92524752
	s_mul_i32 s61, s60, s61                                    // 00000000F2A4: 923D3D3C
	s_add_u32 s82, s82, s61                                    // 00000000F2A8: 80523D52
	v_mul_lo_u32 v7, v4, s82                                   // 00000000F2AC: D2850007 0000A504
	v_add_u32_e32 v74, v6, v7                                  // 00000000F2B4: 68940F06
	v_readlane_b32 s82, v3, 26                                 // 00000000F2B8: D2890052 00013503
	s_lshr_b32 s61, s82, 24                                    // 00000000F2C0: 8F3D9852
	s_and_b32 s82, s82, 0xffffff                               // 00000000F2C4: 8652FF52 00FFFFFF
	s_mul_i32 s82, s82, s71                                    // 00000000F2CC: 92524752
	s_mul_i32 s61, s60, s61                                    // 00000000F2D0: 923D3D3C
	s_add_u32 s82, s82, s61                                    // 00000000F2D4: 80523D52
	v_mul_lo_u32 v6, v5, s82                                   // 00000000F2D8: D2850006 0000A505
	v_readlane_b32 s82, v3, 27                                 // 00000000F2E0: D2890052 00013703
	s_lshr_b32 s61, s82, 24                                    // 00000000F2E8: 8F3D9852
	s_and_b32 s82, s82, 0xffffff                               // 00000000F2EC: 8652FF52 00FFFFFF
	s_mul_i32 s82, s82, s71                                    // 00000000F2F4: 92524752
	s_mul_i32 s61, s60, s61                                    // 00000000F2F8: 923D3D3C
	s_add_u32 s82, s82, s61                                    // 00000000F2FC: 80523D52
	v_mul_lo_u32 v7, v4, s82                                   // 00000000F300: D2850007 0000A504
	v_add_u32_e32 v75, v6, v7                                  // 00000000F308: 68960F06
	v_readlane_b32 s82, v3, 28                                 // 00000000F30C: D2890052 00013903
	s_lshr_b32 s61, s82, 24                                    // 00000000F314: 8F3D9852
	s_and_b32 s82, s82, 0xffffff                               // 00000000F318: 8652FF52 00FFFFFF
	s_mul_i32 s82, s82, s71                                    // 00000000F320: 92524752
	s_mul_i32 s61, s60, s61                                    // 00000000F324: 923D3D3C
	s_add_u32 s82, s82, s61                                    // 00000000F328: 80523D52
	v_mul_lo_u32 v6, v5, s82                                   // 00000000F32C: D2850006 0000A505
	v_readlane_b32 s82, v3, 29                                 // 00000000F334: D2890052 00013B03
	s_lshr_b32 s61, s82, 24                                    // 00000000F33C: 8F3D9852
	s_and_b32 s82, s82, 0xffffff                               // 00000000F340: 8652FF52 00FFFFFF
	s_mul_i32 s82, s82, s71                                    // 00000000F348: 92524752
	s_mul_i32 s61, s60, s61                                    // 00000000F34C: 923D3D3C
	s_add_u32 s82, s82, s61                                    // 00000000F350: 80523D52
	v_mul_lo_u32 v7, v4, s82                                   // 00000000F354: D2850007 0000A504
	v_add_u32_e32 v76, v6, v7                                  // 00000000F35C: 68980F06
	v_readlane_b32 s82, v3, 30                                 // 00000000F360: D2890052 00013D03
	s_lshr_b32 s61, s82, 24                                    // 00000000F368: 8F3D9852
	s_and_b32 s82, s82, 0xffffff                               // 00000000F36C: 8652FF52 00FFFFFF
	s_mul_i32 s82, s82, s71                                    // 00000000F374: 92524752
	s_mul_i32 s61, s60, s61                                    // 00000000F378: 923D3D3C
	s_add_u32 s82, s82, s61                                    // 00000000F37C: 80523D52
	v_mul_lo_u32 v6, v5, s82                                   // 00000000F380: D2850006 0000A505
	v_readlane_b32 s82, v3, 31                                 // 00000000F388: D2890052 00013F03
	s_lshr_b32 s61, s82, 24                                    // 00000000F390: 8F3D9852
	s_and_b32 s82, s82, 0xffffff                               // 00000000F394: 8652FF52 00FFFFFF
	s_mul_i32 s82, s82, s71                                    // 00000000F39C: 92524752
	s_mul_i32 s61, s60, s61                                    // 00000000F3A0: 923D3D3C
	s_add_u32 s82, s82, s61                                    // 00000000F3A4: 80523D52
	v_mul_lo_u32 v7, v4, s82                                   // 00000000F3A8: D2850007 0000A504
	v_add_u32_e32 v77, v6, v7                                  // 00000000F3B0: 689A0F06
	v_and_b32_e32 v4, 31, v0                                   // 00000000F3B4: 2608009F
	v_lshrrev_b32_e32 v4, 1, v4                                // 00000000F3B8: 20080881
	s_cmp_eq_u32 s88, 0                                        // 00000000F3BC: BF068058
	s_cselect_b32 s61, 2, 4                                    // 00000000F3C0: 853D8482
	v_mul_lo_u32 v4, v4, s61                                   // 00000000F3C4: D2850004 00007B04
	v_and_b32_e64 v5, v0, 1                                    // 00000000F3CC: D1130005 00010300
	v_add_u32_e32 v4, v4, v5                                   // 00000000F3D4: 68080B04
	v_lshlrev_b32_e32 v4, 2, v4                                // 00000000F3D8: 24080882
	v_add_u32_e32 v62, v62, v4                                 // 00000000F3DC: 687C093E
	v_add_u32_e32 v63, v63, v4                                 // 00000000F3E0: 687E093F
	v_add_u32_e32 v64, v64, v4                                 // 00000000F3E4: 68800940
	v_add_u32_e32 v65, v65, v4                                 // 00000000F3E8: 68820941
	v_add_u32_e32 v66, v66, v4                                 // 00000000F3EC: 68840942
	v_add_u32_e32 v67, v67, v4                                 // 00000000F3F0: 68860943
	v_add_u32_e32 v68, v68, v4                                 // 00000000F3F4: 68880944
	v_add_u32_e32 v69, v69, v4                                 // 00000000F3F8: 688A0945
	v_add_u32_e32 v70, v70, v4                                 // 00000000F3FC: 688C0946
	v_add_u32_e32 v71, v71, v4                                 // 00000000F400: 688E0947
	v_add_u32_e32 v72, v72, v4                                 // 00000000F404: 68900948
	v_add_u32_e32 v73, v73, v4                                 // 00000000F408: 68920949
	v_add_u32_e32 v74, v74, v4                                 // 00000000F40C: 6894094A
	v_add_u32_e32 v75, v75, v4                                 // 00000000F410: 6896094B
	v_add_u32_e32 v76, v76, v4                                 // 00000000F414: 6898094C
	v_add_u32_e32 v77, v77, v4                                 // 00000000F418: 689A094D
	s_waitcnt lgkmcnt(0)                                       // 00000000F41C: BF8CC07F
	s_barrier                                                  // 00000000F420: BF8A0000
	ds_read_b32 v80, v21                                       // 00000000F424: D86C0000 50000015
	ds_read_b32 v81, v21 offset:64                             // 00000000F42C: D86C0040 51000015
	ds_read_b32 v82, v21 offset:2176                           // 00000000F434: D86C0880 52000015
	ds_read_b32 v83, v21 offset:2240                           // 00000000F43C: D86C08C0 53000015
	ds_read_b32 v84, v21 offset:4352                           // 00000000F444: D86C1100 54000015
	ds_read_b32 v85, v21 offset:4416                           // 00000000F44C: D86C1140 55000015
	ds_read_b32 v86, v21 offset:6528                           // 00000000F454: D86C1980 56000015
	ds_read_b32 v87, v21 offset:6592                           // 00000000F45C: D86C19C0 57000015
	ds_read_b32 v88, v21 offset:8704                           // 00000000F464: D86C2200 58000015
	ds_read_b32 v89, v21 offset:8768                           // 00000000F46C: D86C2240 59000015
	ds_read_b32 v90, v21 offset:10880                          // 00000000F474: D86C2A80 5A000015
	ds_read_b32 v91, v21 offset:10944                          // 00000000F47C: D86C2AC0 5B000015
	ds_read_b32 v92, v21 offset:13056                          // 00000000F484: D86C3300 5C000015
	ds_read_b32 v93, v21 offset:13120                          // 00000000F48C: D86C3340 5D000015
	ds_read_b32 v94, v21 offset:15232                          // 00000000F494: D86C3B80 5E000015
	ds_read_b32 v95, v21 offset:15296                          // 00000000F49C: D86C3BC0 5F000015
	ds_read_b32 v96, v21 offset:17408                          // 00000000F4A4: D86C4400 60000015
	ds_read_b32 v97, v21 offset:17472                          // 00000000F4AC: D86C4440 61000015
	ds_read_b32 v98, v21 offset:19584                          // 00000000F4B4: D86C4C80 62000015
	ds_read_b32 v99, v21 offset:19648                          // 00000000F4BC: D86C4CC0 63000015
	ds_read_b32 v100, v21 offset:21760                         // 00000000F4C4: D86C5500 64000015
	ds_read_b32 v101, v21 offset:21824                         // 00000000F4CC: D86C5540 65000015
	ds_read_b32 v102, v21 offset:23936                         // 00000000F4D4: D86C5D80 66000015
	ds_read_b32 v103, v21 offset:24000                         // 00000000F4DC: D86C5DC0 67000015
	ds_read_b32 v104, v21 offset:26112                         // 00000000F4E4: D86C6600 68000015
	ds_read_b32 v105, v21 offset:26176                         // 00000000F4EC: D86C6640 69000015
	ds_read_b32 v106, v21 offset:28288                         // 00000000F4F4: D86C6E80 6A000015
	ds_read_b32 v107, v21 offset:28352                         // 00000000F4FC: D86C6EC0 6B000015
	ds_read_b32 v108, v21 offset:30464                         // 00000000F504: D86C7700 6C000015
	ds_read_b32 v109, v21 offset:30528                         // 00000000F50C: D86C7740 6D000015
	ds_read_b32 v110, v21 offset:32640                         // 00000000F514: D86C7F80 6E000015
	ds_read_b32 v111, v21 offset:32704                         // 00000000F51C: D86C7FC0 6F000015
	s_waitcnt lgkmcnt(0)                                       // 00000000F524: BF8CC07F
	s_mov_b32 s36, -1                                          // 00000000F528: BEA400C1
	s_mov_b32 s37, -1                                          // 00000000F52C: BEA500C1
	v_mov_b32_e32 v7, 0                                        // 00000000F530: 7E0E0280
	s_or_b32 s9, s9, 0x40000                                   // 00000000F534: 8709FF09 00040000
	s_mov_b64 exec, s[36:37]                                   // 00000000F53C: BEFE0124
	v_mov_b32_e32 v6, v62                                      // 00000000F540: 7E0C033E
	s_mov_b64 s[60:61], 0                                      // 00000000F544: BEBC0180
	v_readlane_b32 s82, v3, 0                                  // 00000000F548: D2890052 00010103
	s_and_b32 s82, s82, 0xffffff                               // 00000000F550: 8652FF52 00FFFFFF
	s_cmp_lt_u32 s82, s66                                      // 00000000F558: BF0A4252
	s_cselect_b32 s20, s36, s60                                // 00000000F55C: 85143C24
	v_readlane_b32 s82, v3, 1                                  // 00000000F560: D2890052 00010303
	s_and_b32 s82, s82, 0xffffff                               // 00000000F568: 8652FF52 00FFFFFF
	s_cmp_lt_u32 s82, s66                                      // 00000000F570: BF0A4252
	s_cselect_b32 s21, s36, s60                                // 00000000F574: 85153C24
	s_mov_b64 exec, s[20:21]                                   // 00000000F578: BEFE0114
	buffer_store_dword v80, v6, s[8:11], 0 offen               // 00000000F57C: E0701000 80025006
	buffer_store_dword v82, v6, s[8:11], 0 offen offset:128    // 00000000F584: E0701080 80025206
	s_mov_b64 exec, s[36:37]                                   // 00000000F58C: BEFE0124
	v_mov_b32_e32 v6, v63                                      // 00000000F590: 7E0C033F
	s_mov_b64 s[60:61], 0                                      // 00000000F594: BEBC0180
	v_readlane_b32 s82, v3, 2                                  // 00000000F598: D2890052 00010503
	s_and_b32 s82, s82, 0xffffff                               // 00000000F5A0: 8652FF52 00FFFFFF
	s_cmp_lt_u32 s82, s66                                      // 00000000F5A8: BF0A4252
	s_cselect_b32 s20, s36, s60                                // 00000000F5AC: 85143C24
	v_readlane_b32 s82, v3, 3                                  // 00000000F5B0: D2890052 00010703
	s_and_b32 s82, s82, 0xffffff                               // 00000000F5B8: 8652FF52 00FFFFFF
	s_cmp_lt_u32 s82, s66                                      // 00000000F5C0: BF0A4252
	s_cselect_b32 s21, s36, s60                                // 00000000F5C4: 85153C24
	s_mov_b64 exec, s[20:21]                                   // 00000000F5C8: BEFE0114
	buffer_store_dword v81, v6, s[8:11], 0 offen               // 00000000F5CC: E0701000 80025106
	buffer_store_dword v83, v6, s[8:11], 0 offen offset:128    // 00000000F5D4: E0701080 80025306
	s_mov_b64 exec, s[36:37]                                   // 00000000F5DC: BEFE0124
	v_mov_b32_e32 v6, v64                                      // 00000000F5E0: 7E0C0340
	s_mov_b64 s[60:61], 0                                      // 00000000F5E4: BEBC0180
	v_readlane_b32 s82, v3, 4                                  // 00000000F5E8: D2890052 00010903
	s_and_b32 s82, s82, 0xffffff                               // 00000000F5F0: 8652FF52 00FFFFFF
	s_cmp_lt_u32 s82, s66                                      // 00000000F5F8: BF0A4252
	s_cselect_b32 s20, s36, s60                                // 00000000F5FC: 85143C24
	v_readlane_b32 s82, v3, 5                                  // 00000000F600: D2890052 00010B03
	s_and_b32 s82, s82, 0xffffff                               // 00000000F608: 8652FF52 00FFFFFF
	s_cmp_lt_u32 s82, s66                                      // 00000000F610: BF0A4252
	s_cselect_b32 s21, s36, s60                                // 00000000F614: 85153C24
	s_mov_b64 exec, s[20:21]                                   // 00000000F618: BEFE0114
	buffer_store_dword v84, v6, s[8:11], 0 offen               // 00000000F61C: E0701000 80025406
	buffer_store_dword v86, v6, s[8:11], 0 offen offset:128    // 00000000F624: E0701080 80025606
	s_mov_b64 exec, s[36:37]                                   // 00000000F62C: BEFE0124
	v_mov_b32_e32 v6, v65                                      // 00000000F630: 7E0C0341
	s_mov_b64 s[60:61], 0                                      // 00000000F634: BEBC0180
	v_readlane_b32 s82, v3, 6                                  // 00000000F638: D2890052 00010D03
	s_and_b32 s82, s82, 0xffffff                               // 00000000F640: 8652FF52 00FFFFFF
	s_cmp_lt_u32 s82, s66                                      // 00000000F648: BF0A4252
	s_cselect_b32 s20, s36, s60                                // 00000000F64C: 85143C24
	v_readlane_b32 s82, v3, 7                                  // 00000000F650: D2890052 00010F03
	s_and_b32 s82, s82, 0xffffff                               // 00000000F658: 8652FF52 00FFFFFF
	s_cmp_lt_u32 s82, s66                                      // 00000000F660: BF0A4252
	s_cselect_b32 s21, s36, s60                                // 00000000F664: 85153C24
	s_mov_b64 exec, s[20:21]                                   // 00000000F668: BEFE0114
	buffer_store_dword v85, v6, s[8:11], 0 offen               // 00000000F66C: E0701000 80025506
	buffer_store_dword v87, v6, s[8:11], 0 offen offset:128    // 00000000F674: E0701080 80025706
	s_mov_b64 exec, s[36:37]                                   // 00000000F67C: BEFE0124
	v_mov_b32_e32 v6, v66                                      // 00000000F680: 7E0C0342
	s_mov_b64 s[60:61], 0                                      // 00000000F684: BEBC0180
	v_readlane_b32 s82, v3, 8                                  // 00000000F688: D2890052 00011103
	s_and_b32 s82, s82, 0xffffff                               // 00000000F690: 8652FF52 00FFFFFF
	s_cmp_lt_u32 s82, s66                                      // 00000000F698: BF0A4252
	s_cselect_b32 s20, s36, s60                                // 00000000F69C: 85143C24
	v_readlane_b32 s82, v3, 9                                  // 00000000F6A0: D2890052 00011303
	s_and_b32 s82, s82, 0xffffff                               // 00000000F6A8: 8652FF52 00FFFFFF
	s_cmp_lt_u32 s82, s66                                      // 00000000F6B0: BF0A4252
	s_cselect_b32 s21, s36, s60                                // 00000000F6B4: 85153C24
	s_mov_b64 exec, s[20:21]                                   // 00000000F6B8: BEFE0114
	buffer_store_dword v88, v6, s[8:11], 0 offen               // 00000000F6BC: E0701000 80025806
	buffer_store_dword v90, v6, s[8:11], 0 offen offset:128    // 00000000F6C4: E0701080 80025A06
	s_mov_b64 exec, s[36:37]                                   // 00000000F6CC: BEFE0124
	v_mov_b32_e32 v6, v67                                      // 00000000F6D0: 7E0C0343
	s_mov_b64 s[60:61], 0                                      // 00000000F6D4: BEBC0180
	v_readlane_b32 s82, v3, 10                                 // 00000000F6D8: D2890052 00011503
	s_and_b32 s82, s82, 0xffffff                               // 00000000F6E0: 8652FF52 00FFFFFF
	s_cmp_lt_u32 s82, s66                                      // 00000000F6E8: BF0A4252
	s_cselect_b32 s20, s36, s60                                // 00000000F6EC: 85143C24
	v_readlane_b32 s82, v3, 11                                 // 00000000F6F0: D2890052 00011703
	s_and_b32 s82, s82, 0xffffff                               // 00000000F6F8: 8652FF52 00FFFFFF
	s_cmp_lt_u32 s82, s66                                      // 00000000F700: BF0A4252
	s_cselect_b32 s21, s36, s60                                // 00000000F704: 85153C24
	s_mov_b64 exec, s[20:21]                                   // 00000000F708: BEFE0114
	buffer_store_dword v89, v6, s[8:11], 0 offen               // 00000000F70C: E0701000 80025906
	buffer_store_dword v91, v6, s[8:11], 0 offen offset:128    // 00000000F714: E0701080 80025B06
	s_mov_b64 exec, s[36:37]                                   // 00000000F71C: BEFE0124
	v_mov_b32_e32 v6, v68                                      // 00000000F720: 7E0C0344
	s_mov_b64 s[60:61], 0                                      // 00000000F724: BEBC0180
	v_readlane_b32 s82, v3, 12                                 // 00000000F728: D2890052 00011903
	s_and_b32 s82, s82, 0xffffff                               // 00000000F730: 8652FF52 00FFFFFF
	s_cmp_lt_u32 s82, s66                                      // 00000000F738: BF0A4252
	s_cselect_b32 s20, s36, s60                                // 00000000F73C: 85143C24
	v_readlane_b32 s82, v3, 13                                 // 00000000F740: D2890052 00011B03
	s_and_b32 s82, s82, 0xffffff                               // 00000000F748: 8652FF52 00FFFFFF
	s_cmp_lt_u32 s82, s66                                      // 00000000F750: BF0A4252
	s_cselect_b32 s21, s36, s60                                // 00000000F754: 85153C24
	s_mov_b64 exec, s[20:21]                                   // 00000000F758: BEFE0114
	buffer_store_dword v92, v6, s[8:11], 0 offen               // 00000000F75C: E0701000 80025C06
	buffer_store_dword v94, v6, s[8:11], 0 offen offset:128    // 00000000F764: E0701080 80025E06
	s_mov_b64 exec, s[36:37]                                   // 00000000F76C: BEFE0124
	v_mov_b32_e32 v6, v69                                      // 00000000F770: 7E0C0345
	s_mov_b64 s[60:61], 0                                      // 00000000F774: BEBC0180
	v_readlane_b32 s82, v3, 14                                 // 00000000F778: D2890052 00011D03
	s_and_b32 s82, s82, 0xffffff                               // 00000000F780: 8652FF52 00FFFFFF
	s_cmp_lt_u32 s82, s66                                      // 00000000F788: BF0A4252
	s_cselect_b32 s20, s36, s60                                // 00000000F78C: 85143C24
	v_readlane_b32 s82, v3, 15                                 // 00000000F790: D2890052 00011F03
	s_and_b32 s82, s82, 0xffffff                               // 00000000F798: 8652FF52 00FFFFFF
	s_cmp_lt_u32 s82, s66                                      // 00000000F7A0: BF0A4252
	s_cselect_b32 s21, s36, s60                                // 00000000F7A4: 85153C24
	s_mov_b64 exec, s[20:21]                                   // 00000000F7A8: BEFE0114
	buffer_store_dword v93, v6, s[8:11], 0 offen               // 00000000F7AC: E0701000 80025D06
	buffer_store_dword v95, v6, s[8:11], 0 offen offset:128    // 00000000F7B4: E0701080 80025F06
	s_mov_b64 exec, s[36:37]                                   // 00000000F7BC: BEFE0124
	v_mov_b32_e32 v6, v70                                      // 00000000F7C0: 7E0C0346
	s_mov_b64 s[60:61], 0                                      // 00000000F7C4: BEBC0180
	v_readlane_b32 s82, v3, 16                                 // 00000000F7C8: D2890052 00012103
	s_and_b32 s82, s82, 0xffffff                               // 00000000F7D0: 8652FF52 00FFFFFF
	s_cmp_lt_u32 s82, s66                                      // 00000000F7D8: BF0A4252
	s_cselect_b32 s20, s36, s60                                // 00000000F7DC: 85143C24
	v_readlane_b32 s82, v3, 17                                 // 00000000F7E0: D2890052 00012303
	s_and_b32 s82, s82, 0xffffff                               // 00000000F7E8: 8652FF52 00FFFFFF
	s_cmp_lt_u32 s82, s66                                      // 00000000F7F0: BF0A4252
	s_cselect_b32 s21, s36, s60                                // 00000000F7F4: 85153C24
	s_mov_b64 exec, s[20:21]                                   // 00000000F7F8: BEFE0114
	buffer_store_dword v96, v6, s[8:11], 0 offen               // 00000000F7FC: E0701000 80026006
	buffer_store_dword v98, v6, s[8:11], 0 offen offset:128    // 00000000F804: E0701080 80026206
	s_mov_b64 exec, s[36:37]                                   // 00000000F80C: BEFE0124
	v_mov_b32_e32 v6, v71                                      // 00000000F810: 7E0C0347
	s_mov_b64 s[60:61], 0                                      // 00000000F814: BEBC0180
	v_readlane_b32 s82, v3, 18                                 // 00000000F818: D2890052 00012503
	s_and_b32 s82, s82, 0xffffff                               // 00000000F820: 8652FF52 00FFFFFF
	s_cmp_lt_u32 s82, s66                                      // 00000000F828: BF0A4252
	s_cselect_b32 s20, s36, s60                                // 00000000F82C: 85143C24
	v_readlane_b32 s82, v3, 19                                 // 00000000F830: D2890052 00012703
	s_and_b32 s82, s82, 0xffffff                               // 00000000F838: 8652FF52 00FFFFFF
	s_cmp_lt_u32 s82, s66                                      // 00000000F840: BF0A4252
	s_cselect_b32 s21, s36, s60                                // 00000000F844: 85153C24
	s_mov_b64 exec, s[20:21]                                   // 00000000F848: BEFE0114
	buffer_store_dword v97, v6, s[8:11], 0 offen               // 00000000F84C: E0701000 80026106
	buffer_store_dword v99, v6, s[8:11], 0 offen offset:128    // 00000000F854: E0701080 80026306
	s_mov_b64 exec, s[36:37]                                   // 00000000F85C: BEFE0124
	v_mov_b32_e32 v6, v72                                      // 00000000F860: 7E0C0348
	s_mov_b64 s[60:61], 0                                      // 00000000F864: BEBC0180
	v_readlane_b32 s82, v3, 20                                 // 00000000F868: D2890052 00012903
	s_and_b32 s82, s82, 0xffffff                               // 00000000F870: 8652FF52 00FFFFFF
	s_cmp_lt_u32 s82, s66                                      // 00000000F878: BF0A4252
	s_cselect_b32 s20, s36, s60                                // 00000000F87C: 85143C24
	v_readlane_b32 s82, v3, 21                                 // 00000000F880: D2890052 00012B03
	s_and_b32 s82, s82, 0xffffff                               // 00000000F888: 8652FF52 00FFFFFF
	s_cmp_lt_u32 s82, s66                                      // 00000000F890: BF0A4252
	s_cselect_b32 s21, s36, s60                                // 00000000F894: 85153C24
	s_mov_b64 exec, s[20:21]                                   // 00000000F898: BEFE0114
	buffer_store_dword v100, v6, s[8:11], 0 offen              // 00000000F89C: E0701000 80026406
	buffer_store_dword v102, v6, s[8:11], 0 offen offset:128   // 00000000F8A4: E0701080 80026606
	s_mov_b64 exec, s[36:37]                                   // 00000000F8AC: BEFE0124
	v_mov_b32_e32 v6, v73                                      // 00000000F8B0: 7E0C0349
	s_mov_b64 s[60:61], 0                                      // 00000000F8B4: BEBC0180
	v_readlane_b32 s82, v3, 22                                 // 00000000F8B8: D2890052 00012D03
	s_and_b32 s82, s82, 0xffffff                               // 00000000F8C0: 8652FF52 00FFFFFF
	s_cmp_lt_u32 s82, s66                                      // 00000000F8C8: BF0A4252
	s_cselect_b32 s20, s36, s60                                // 00000000F8CC: 85143C24
	v_readlane_b32 s82, v3, 23                                 // 00000000F8D0: D2890052 00012F03
	s_and_b32 s82, s82, 0xffffff                               // 00000000F8D8: 8652FF52 00FFFFFF
	s_cmp_lt_u32 s82, s66                                      // 00000000F8E0: BF0A4252
	s_cselect_b32 s21, s36, s60                                // 00000000F8E4: 85153C24
	s_mov_b64 exec, s[20:21]                                   // 00000000F8E8: BEFE0114
	buffer_store_dword v101, v6, s[8:11], 0 offen              // 00000000F8EC: E0701000 80026506
	buffer_store_dword v103, v6, s[8:11], 0 offen offset:128   // 00000000F8F4: E0701080 80026706
	s_mov_b64 exec, s[36:37]                                   // 00000000F8FC: BEFE0124
	v_mov_b32_e32 v6, v74                                      // 00000000F900: 7E0C034A
	s_mov_b64 s[60:61], 0                                      // 00000000F904: BEBC0180
	v_readlane_b32 s82, v3, 24                                 // 00000000F908: D2890052 00013103
	s_and_b32 s82, s82, 0xffffff                               // 00000000F910: 8652FF52 00FFFFFF
	s_cmp_lt_u32 s82, s66                                      // 00000000F918: BF0A4252
	s_cselect_b32 s20, s36, s60                                // 00000000F91C: 85143C24
	v_readlane_b32 s82, v3, 25                                 // 00000000F920: D2890052 00013303
	s_and_b32 s82, s82, 0xffffff                               // 00000000F928: 8652FF52 00FFFFFF
	s_cmp_lt_u32 s82, s66                                      // 00000000F930: BF0A4252
	s_cselect_b32 s21, s36, s60                                // 00000000F934: 85153C24
	s_mov_b64 exec, s[20:21]                                   // 00000000F938: BEFE0114
	buffer_store_dword v104, v6, s[8:11], 0 offen              // 00000000F93C: E0701000 80026806
	buffer_store_dword v106, v6, s[8:11], 0 offen offset:128   // 00000000F944: E0701080 80026A06
	s_mov_b64 exec, s[36:37]                                   // 00000000F94C: BEFE0124
	v_mov_b32_e32 v6, v75                                      // 00000000F950: 7E0C034B
	s_mov_b64 s[60:61], 0                                      // 00000000F954: BEBC0180
	v_readlane_b32 s82, v3, 26                                 // 00000000F958: D2890052 00013503
	s_and_b32 s82, s82, 0xffffff                               // 00000000F960: 8652FF52 00FFFFFF
	s_cmp_lt_u32 s82, s66                                      // 00000000F968: BF0A4252
	s_cselect_b32 s20, s36, s60                                // 00000000F96C: 85143C24
	v_readlane_b32 s82, v3, 27                                 // 00000000F970: D2890052 00013703
	s_and_b32 s82, s82, 0xffffff                               // 00000000F978: 8652FF52 00FFFFFF
	s_cmp_lt_u32 s82, s66                                      // 00000000F980: BF0A4252
	s_cselect_b32 s21, s36, s60                                // 00000000F984: 85153C24
	s_mov_b64 exec, s[20:21]                                   // 00000000F988: BEFE0114
	buffer_store_dword v105, v6, s[8:11], 0 offen              // 00000000F98C: E0701000 80026906
	buffer_store_dword v107, v6, s[8:11], 0 offen offset:128   // 00000000F994: E0701080 80026B06
	s_mov_b64 exec, s[36:37]                                   // 00000000F99C: BEFE0124
	v_mov_b32_e32 v6, v76                                      // 00000000F9A0: 7E0C034C
	s_mov_b64 s[60:61], 0                                      // 00000000F9A4: BEBC0180
	v_readlane_b32 s82, v3, 28                                 // 00000000F9A8: D2890052 00013903
	s_and_b32 s82, s82, 0xffffff                               // 00000000F9B0: 8652FF52 00FFFFFF
	s_cmp_lt_u32 s82, s66                                      // 00000000F9B8: BF0A4252
	s_cselect_b32 s20, s36, s60                                // 00000000F9BC: 85143C24
	v_readlane_b32 s82, v3, 29                                 // 00000000F9C0: D2890052 00013B03
	s_and_b32 s82, s82, 0xffffff                               // 00000000F9C8: 8652FF52 00FFFFFF
	s_cmp_lt_u32 s82, s66                                      // 00000000F9D0: BF0A4252
	s_cselect_b32 s21, s36, s60                                // 00000000F9D4: 85153C24
	s_mov_b64 exec, s[20:21]                                   // 00000000F9D8: BEFE0114
	buffer_store_dword v108, v6, s[8:11], 0 offen              // 00000000F9DC: E0701000 80026C06
	buffer_store_dword v110, v6, s[8:11], 0 offen offset:128   // 00000000F9E4: E0701080 80026E06
	s_mov_b64 exec, s[36:37]                                   // 00000000F9EC: BEFE0124
	v_mov_b32_e32 v6, v77                                      // 00000000F9F0: 7E0C034D
	s_mov_b64 s[60:61], 0                                      // 00000000F9F4: BEBC0180
	v_readlane_b32 s82, v3, 30                                 // 00000000F9F8: D2890052 00013D03
	s_and_b32 s82, s82, 0xffffff                               // 00000000FA00: 8652FF52 00FFFFFF
	s_cmp_lt_u32 s82, s66                                      // 00000000FA08: BF0A4252
	s_cselect_b32 s20, s36, s60                                // 00000000FA0C: 85143C24
	v_readlane_b32 s82, v3, 31                                 // 00000000FA10: D2890052 00013F03
	s_and_b32 s82, s82, 0xffffff                               // 00000000FA18: 8652FF52 00FFFFFF
	s_cmp_lt_u32 s82, s66                                      // 00000000FA20: BF0A4252
	s_cselect_b32 s21, s36, s60                                // 00000000FA24: 85153C24
	s_mov_b64 exec, s[20:21]                                   // 00000000FA28: BEFE0114
	buffer_store_dword v109, v6, s[8:11], 0 offen              // 00000000FA2C: E0701000 80026D06
	buffer_store_dword v111, v6, s[8:11], 0 offen offset:128   // 00000000FA34: E0701080 80026F06
	s_mov_b64 exec, s[36:37]                                   // 00000000FA3C: BEFE0124
	s_branch label_3C1E                                        // 00000000FA40: BF82080A

000000000000fa44 <label_3414>:
	ds_write_b64 v20, v[80:81]                                 // 00000000FA44: D89A0000 00005014
	ds_write_b64 v20, v[84:85] offset:4352                     // 00000000FA4C: D89A1100 00005414
	ds_write_b64 v20, v[88:89] offset:8704                     // 00000000FA54: D89A2200 00005814
	ds_write_b64 v20, v[92:93] offset:13056                    // 00000000FA5C: D89A3300 00005C14
	ds_write_b64 v20, v[96:97] offset:17408                    // 00000000FA64: D89A4400 00006014
	ds_write_b64 v20, v[100:101] offset:21760                  // 00000000FA6C: D89A5500 00006414
	ds_write_b64 v20, v[104:105] offset:26112                  // 00000000FA74: D89A6600 00006814
	ds_write_b64 v20, v[108:109] offset:30464                  // 00000000FA7C: D89A7700 00006C14
	ds_write_b64 v20, v[112:113] offset:2176                   // 00000000FA84: D89A0880 00007014
	ds_write_b64 v20, v[116:117] offset:6528                   // 00000000FA8C: D89A1980 00007414
	ds_write_b64 v20, v[120:121] offset:10880                  // 00000000FA94: D89A2A80 00007814
	ds_write_b64 v20, v[124:125] offset:15232                  // 00000000FA9C: D89A3B80 00007C14
	ds_write_b64 v20, v[128:129] offset:19584                  // 00000000FAA4: D89A4C80 00008014
	ds_write_b64 v20, v[132:133] offset:23936                  // 00000000FAAC: D89A5D80 00008414
	ds_write_b64 v20, v[136:137] offset:28288                  // 00000000FAB4: D89A6E80 00008814
	ds_write_b64 v20, v[140:141] offset:32640                  // 00000000FABC: D89A7F80 00008C14
	v_lshrrev_b32_e32 v4, 5, v0                                // 00000000FAC4: 20080085
	v_xor_b32_e32 v5, 1, v4                                    // 00000000FAC8: 2A0A0881
	s_mul_i32 s60, s65, 2                                      // 00000000FACC: 923C8241
	s_cmp_eq_u32 s88, 0                                        // 00000000FAD0: BF068058
	s_cselect_b32 s61, 1, 4                                    // 00000000FAD4: 853D8481
	s_mul_i32 s60, s61, s60                                    // 00000000FAD8: 923C3C3D
	v_readlane_b32 s82, v3, 0                                  // 00000000FADC: D2890052 00010103
	s_lshr_b32 s61, s82, 24                                    // 00000000FAE4: 8F3D9852
	s_and_b32 s82, s82, 0xffffff                               // 00000000FAE8: 8652FF52 00FFFFFF
	s_mul_i32 s82, s82, s71                                    // 00000000FAF0: 92524752
	s_mul_i32 s61, s60, s61                                    // 00000000FAF4: 923D3D3C
	s_add_u32 s82, s82, s61                                    // 00000000FAF8: 80523D52
	v_mul_lo_u32 v6, v5, s82                                   // 00000000FAFC: D2850006 0000A505
	v_readlane_b32 s82, v3, 1                                  // 00000000FB04: D2890052 00010303
	s_lshr_b32 s61, s82, 24                                    // 00000000FB0C: 8F3D9852
	s_and_b32 s82, s82, 0xffffff                               // 00000000FB10: 8652FF52 00FFFFFF
	s_mul_i32 s82, s82, s71                                    // 00000000FB18: 92524752
	s_mul_i32 s61, s60, s61                                    // 00000000FB1C: 923D3D3C
	s_add_u32 s82, s82, s61                                    // 00000000FB20: 80523D52
	v_mul_lo_u32 v7, v4, s82                                   // 00000000FB24: D2850007 0000A504
	v_add_u32_e32 v62, v6, v7                                  // 00000000FB2C: 687C0F06
	v_readlane_b32 s82, v3, 2                                  // 00000000FB30: D2890052 00010503
	s_lshr_b32 s61, s82, 24                                    // 00000000FB38: 8F3D9852
	s_and_b32 s82, s82, 0xffffff                               // 00000000FB3C: 8652FF52 00FFFFFF
	s_mul_i32 s82, s82, s71                                    // 00000000FB44: 92524752
	s_mul_i32 s61, s60, s61                                    // 00000000FB48: 923D3D3C
	s_add_u32 s82, s82, s61                                    // 00000000FB4C: 80523D52
	v_mul_lo_u32 v6, v5, s82                                   // 00000000FB50: D2850006 0000A505
	v_readlane_b32 s82, v3, 3                                  // 00000000FB58: D2890052 00010703
	s_lshr_b32 s61, s82, 24                                    // 00000000FB60: 8F3D9852
	s_and_b32 s82, s82, 0xffffff                               // 00000000FB64: 8652FF52 00FFFFFF
	s_mul_i32 s82, s82, s71                                    // 00000000FB6C: 92524752
	s_mul_i32 s61, s60, s61                                    // 00000000FB70: 923D3D3C
	s_add_u32 s82, s82, s61                                    // 00000000FB74: 80523D52
	v_mul_lo_u32 v7, v4, s82                                   // 00000000FB78: D2850007 0000A504
	v_add_u32_e32 v63, v6, v7                                  // 00000000FB80: 687E0F06
	v_readlane_b32 s82, v3, 4                                  // 00000000FB84: D2890052 00010903
	s_lshr_b32 s61, s82, 24                                    // 00000000FB8C: 8F3D9852
	s_and_b32 s82, s82, 0xffffff                               // 00000000FB90: 8652FF52 00FFFFFF
	s_mul_i32 s82, s82, s71                                    // 00000000FB98: 92524752
	s_mul_i32 s61, s60, s61                                    // 00000000FB9C: 923D3D3C
	s_add_u32 s82, s82, s61                                    // 00000000FBA0: 80523D52
	v_mul_lo_u32 v6, v5, s82                                   // 00000000FBA4: D2850006 0000A505
	v_readlane_b32 s82, v3, 5                                  // 00000000FBAC: D2890052 00010B03
	s_lshr_b32 s61, s82, 24                                    // 00000000FBB4: 8F3D9852
	s_and_b32 s82, s82, 0xffffff                               // 00000000FBB8: 8652FF52 00FFFFFF
	s_mul_i32 s82, s82, s71                                    // 00000000FBC0: 92524752
	s_mul_i32 s61, s60, s61                                    // 00000000FBC4: 923D3D3C
	s_add_u32 s82, s82, s61                                    // 00000000FBC8: 80523D52
	v_mul_lo_u32 v7, v4, s82                                   // 00000000FBCC: D2850007 0000A504
	v_add_u32_e32 v64, v6, v7                                  // 00000000FBD4: 68800F06
	v_readlane_b32 s82, v3, 6                                  // 00000000FBD8: D2890052 00010D03
	s_lshr_b32 s61, s82, 24                                    // 00000000FBE0: 8F3D9852
	s_and_b32 s82, s82, 0xffffff                               // 00000000FBE4: 8652FF52 00FFFFFF
	s_mul_i32 s82, s82, s71                                    // 00000000FBEC: 92524752
	s_mul_i32 s61, s60, s61                                    // 00000000FBF0: 923D3D3C
	s_add_u32 s82, s82, s61                                    // 00000000FBF4: 80523D52
	v_mul_lo_u32 v6, v5, s82                                   // 00000000FBF8: D2850006 0000A505
	v_readlane_b32 s82, v3, 7                                  // 00000000FC00: D2890052 00010F03
	s_lshr_b32 s61, s82, 24                                    // 00000000FC08: 8F3D9852
	s_and_b32 s82, s82, 0xffffff                               // 00000000FC0C: 8652FF52 00FFFFFF
	s_mul_i32 s82, s82, s71                                    // 00000000FC14: 92524752
	s_mul_i32 s61, s60, s61                                    // 00000000FC18: 923D3D3C
	s_add_u32 s82, s82, s61                                    // 00000000FC1C: 80523D52
	v_mul_lo_u32 v7, v4, s82                                   // 00000000FC20: D2850007 0000A504
	v_add_u32_e32 v65, v6, v7                                  // 00000000FC28: 68820F06
	v_readlane_b32 s82, v3, 8                                  // 00000000FC2C: D2890052 00011103
	s_lshr_b32 s61, s82, 24                                    // 00000000FC34: 8F3D9852
	s_and_b32 s82, s82, 0xffffff                               // 00000000FC38: 8652FF52 00FFFFFF
	s_mul_i32 s82, s82, s71                                    // 00000000FC40: 92524752
	s_mul_i32 s61, s60, s61                                    // 00000000FC44: 923D3D3C
	s_add_u32 s82, s82, s61                                    // 00000000FC48: 80523D52
	v_mul_lo_u32 v6, v5, s82                                   // 00000000FC4C: D2850006 0000A505
	v_readlane_b32 s82, v3, 9                                  // 00000000FC54: D2890052 00011303
	s_lshr_b32 s61, s82, 24                                    // 00000000FC5C: 8F3D9852
	s_and_b32 s82, s82, 0xffffff                               // 00000000FC60: 8652FF52 00FFFFFF
	s_mul_i32 s82, s82, s71                                    // 00000000FC68: 92524752
	s_mul_i32 s61, s60, s61                                    // 00000000FC6C: 923D3D3C
	s_add_u32 s82, s82, s61                                    // 00000000FC70: 80523D52
	v_mul_lo_u32 v7, v4, s82                                   // 00000000FC74: D2850007 0000A504
	v_add_u32_e32 v66, v6, v7                                  // 00000000FC7C: 68840F06
	v_readlane_b32 s82, v3, 10                                 // 00000000FC80: D2890052 00011503
	s_lshr_b32 s61, s82, 24                                    // 00000000FC88: 8F3D9852
	s_and_b32 s82, s82, 0xffffff                               // 00000000FC8C: 8652FF52 00FFFFFF
	s_mul_i32 s82, s82, s71                                    // 00000000FC94: 92524752
	s_mul_i32 s61, s60, s61                                    // 00000000FC98: 923D3D3C
	s_add_u32 s82, s82, s61                                    // 00000000FC9C: 80523D52
	v_mul_lo_u32 v6, v5, s82                                   // 00000000FCA0: D2850006 0000A505
	v_readlane_b32 s82, v3, 11                                 // 00000000FCA8: D2890052 00011703
	s_lshr_b32 s61, s82, 24                                    // 00000000FCB0: 8F3D9852
	s_and_b32 s82, s82, 0xffffff                               // 00000000FCB4: 8652FF52 00FFFFFF
	s_mul_i32 s82, s82, s71                                    // 00000000FCBC: 92524752
	s_mul_i32 s61, s60, s61                                    // 00000000FCC0: 923D3D3C
	s_add_u32 s82, s82, s61                                    // 00000000FCC4: 80523D52
	v_mul_lo_u32 v7, v4, s82                                   // 00000000FCC8: D2850007 0000A504
	v_add_u32_e32 v67, v6, v7                                  // 00000000FCD0: 68860F06
	v_readlane_b32 s82, v3, 12                                 // 00000000FCD4: D2890052 00011903
	s_lshr_b32 s61, s82, 24                                    // 00000000FCDC: 8F3D9852
	s_and_b32 s82, s82, 0xffffff                               // 00000000FCE0: 8652FF52 00FFFFFF
	s_mul_i32 s82, s82, s71                                    // 00000000FCE8: 92524752
	s_mul_i32 s61, s60, s61                                    // 00000000FCEC: 923D3D3C
	s_add_u32 s82, s82, s61                                    // 00000000FCF0: 80523D52
	v_mul_lo_u32 v6, v5, s82                                   // 00000000FCF4: D2850006 0000A505
	v_readlane_b32 s82, v3, 13                                 // 00000000FCFC: D2890052 00011B03
	s_lshr_b32 s61, s82, 24                                    // 00000000FD04: 8F3D9852
	s_and_b32 s82, s82, 0xffffff                               // 00000000FD08: 8652FF52 00FFFFFF
	s_mul_i32 s82, s82, s71                                    // 00000000FD10: 92524752
	s_mul_i32 s61, s60, s61                                    // 00000000FD14: 923D3D3C
	s_add_u32 s82, s82, s61                                    // 00000000FD18: 80523D52
	v_mul_lo_u32 v7, v4, s82                                   // 00000000FD1C: D2850007 0000A504
	v_add_u32_e32 v68, v6, v7                                  // 00000000FD24: 68880F06
	v_readlane_b32 s82, v3, 14                                 // 00000000FD28: D2890052 00011D03
	s_lshr_b32 s61, s82, 24                                    // 00000000FD30: 8F3D9852
	s_and_b32 s82, s82, 0xffffff                               // 00000000FD34: 8652FF52 00FFFFFF
	s_mul_i32 s82, s82, s71                                    // 00000000FD3C: 92524752
	s_mul_i32 s61, s60, s61                                    // 00000000FD40: 923D3D3C
	s_add_u32 s82, s82, s61                                    // 00000000FD44: 80523D52
	v_mul_lo_u32 v6, v5, s82                                   // 00000000FD48: D2850006 0000A505
	v_readlane_b32 s82, v3, 15                                 // 00000000FD50: D2890052 00011F03
	s_lshr_b32 s61, s82, 24                                    // 00000000FD58: 8F3D9852
	s_and_b32 s82, s82, 0xffffff                               // 00000000FD5C: 8652FF52 00FFFFFF
	s_mul_i32 s82, s82, s71                                    // 00000000FD64: 92524752
	s_mul_i32 s61, s60, s61                                    // 00000000FD68: 923D3D3C
	s_add_u32 s82, s82, s61                                    // 00000000FD6C: 80523D52
	v_mul_lo_u32 v7, v4, s82                                   // 00000000FD70: D2850007 0000A504
	v_add_u32_e32 v69, v6, v7                                  // 00000000FD78: 688A0F06
	v_readlane_b32 s82, v3, 16                                 // 00000000FD7C: D2890052 00012103
	s_lshr_b32 s61, s82, 24                                    // 00000000FD84: 8F3D9852
	s_and_b32 s82, s82, 0xffffff                               // 00000000FD88: 8652FF52 00FFFFFF
	s_mul_i32 s82, s82, s71                                    // 00000000FD90: 92524752
	s_mul_i32 s61, s60, s61                                    // 00000000FD94: 923D3D3C
	s_add_u32 s82, s82, s61                                    // 00000000FD98: 80523D52
	v_mul_lo_u32 v6, v5, s82                                   // 00000000FD9C: D2850006 0000A505
	v_readlane_b32 s82, v3, 17                                 // 00000000FDA4: D2890052 00012303
	s_lshr_b32 s61, s82, 24                                    // 00000000FDAC: 8F3D9852
	s_and_b32 s82, s82, 0xffffff                               // 00000000FDB0: 8652FF52 00FFFFFF
	s_mul_i32 s82, s82, s71                                    // 00000000FDB8: 92524752
	s_mul_i32 s61, s60, s61                                    // 00000000FDBC: 923D3D3C
	s_add_u32 s82, s82, s61                                    // 00000000FDC0: 80523D52
	v_mul_lo_u32 v7, v4, s82                                   // 00000000FDC4: D2850007 0000A504
	v_add_u32_e32 v70, v6, v7                                  // 00000000FDCC: 688C0F06
	v_readlane_b32 s82, v3, 18                                 // 00000000FDD0: D2890052 00012503
	s_lshr_b32 s61, s82, 24                                    // 00000000FDD8: 8F3D9852
	s_and_b32 s82, s82, 0xffffff                               // 00000000FDDC: 8652FF52 00FFFFFF
	s_mul_i32 s82, s82, s71                                    // 00000000FDE4: 92524752
	s_mul_i32 s61, s60, s61                                    // 00000000FDE8: 923D3D3C
	s_add_u32 s82, s82, s61                                    // 00000000FDEC: 80523D52
	v_mul_lo_u32 v6, v5, s82                                   // 00000000FDF0: D2850006 0000A505
	v_readlane_b32 s82, v3, 19                                 // 00000000FDF8: D2890052 00012703
	s_lshr_b32 s61, s82, 24                                    // 00000000FE00: 8F3D9852
	s_and_b32 s82, s82, 0xffffff                               // 00000000FE04: 8652FF52 00FFFFFF
	s_mul_i32 s82, s82, s71                                    // 00000000FE0C: 92524752
	s_mul_i32 s61, s60, s61                                    // 00000000FE10: 923D3D3C
	s_add_u32 s82, s82, s61                                    // 00000000FE14: 80523D52
	v_mul_lo_u32 v7, v4, s82                                   // 00000000FE18: D2850007 0000A504
	v_add_u32_e32 v71, v6, v7                                  // 00000000FE20: 688E0F06
	v_readlane_b32 s82, v3, 20                                 // 00000000FE24: D2890052 00012903
	s_lshr_b32 s61, s82, 24                                    // 00000000FE2C: 8F3D9852
	s_and_b32 s82, s82, 0xffffff                               // 00000000FE30: 8652FF52 00FFFFFF
	s_mul_i32 s82, s82, s71                                    // 00000000FE38: 92524752
	s_mul_i32 s61, s60, s61                                    // 00000000FE3C: 923D3D3C
	s_add_u32 s82, s82, s61                                    // 00000000FE40: 80523D52
	v_mul_lo_u32 v6, v5, s82                                   // 00000000FE44: D2850006 0000A505
	v_readlane_b32 s82, v3, 21                                 // 00000000FE4C: D2890052 00012B03
	s_lshr_b32 s61, s82, 24                                    // 00000000FE54: 8F3D9852
	s_and_b32 s82, s82, 0xffffff                               // 00000000FE58: 8652FF52 00FFFFFF
	s_mul_i32 s82, s82, s71                                    // 00000000FE60: 92524752
	s_mul_i32 s61, s60, s61                                    // 00000000FE64: 923D3D3C
	s_add_u32 s82, s82, s61                                    // 00000000FE68: 80523D52
	v_mul_lo_u32 v7, v4, s82                                   // 00000000FE6C: D2850007 0000A504
	v_add_u32_e32 v72, v6, v7                                  // 00000000FE74: 68900F06
	v_readlane_b32 s82, v3, 22                                 // 00000000FE78: D2890052 00012D03
	s_lshr_b32 s61, s82, 24                                    // 00000000FE80: 8F3D9852
	s_and_b32 s82, s82, 0xffffff                               // 00000000FE84: 8652FF52 00FFFFFF
	s_mul_i32 s82, s82, s71                                    // 00000000FE8C: 92524752
	s_mul_i32 s61, s60, s61                                    // 00000000FE90: 923D3D3C
	s_add_u32 s82, s82, s61                                    // 00000000FE94: 80523D52
	v_mul_lo_u32 v6, v5, s82                                   // 00000000FE98: D2850006 0000A505
	v_readlane_b32 s82, v3, 23                                 // 00000000FEA0: D2890052 00012F03
	s_lshr_b32 s61, s82, 24                                    // 00000000FEA8: 8F3D9852
	s_and_b32 s82, s82, 0xffffff                               // 00000000FEAC: 8652FF52 00FFFFFF
	s_mul_i32 s82, s82, s71                                    // 00000000FEB4: 92524752
	s_mul_i32 s61, s60, s61                                    // 00000000FEB8: 923D3D3C
	s_add_u32 s82, s82, s61                                    // 00000000FEBC: 80523D52
	v_mul_lo_u32 v7, v4, s82                                   // 00000000FEC0: D2850007 0000A504
	v_add_u32_e32 v73, v6, v7                                  // 00000000FEC8: 68920F06
	v_readlane_b32 s82, v3, 24                                 // 00000000FECC: D2890052 00013103
	s_lshr_b32 s61, s82, 24                                    // 00000000FED4: 8F3D9852
	s_and_b32 s82, s82, 0xffffff                               // 00000000FED8: 8652FF52 00FFFFFF
	s_mul_i32 s82, s82, s71                                    // 00000000FEE0: 92524752
	s_mul_i32 s61, s60, s61                                    // 00000000FEE4: 923D3D3C
	s_add_u32 s82, s82, s61                                    // 00000000FEE8: 80523D52
	v_mul_lo_u32 v6, v5, s82                                   // 00000000FEEC: D2850006 0000A505
	v_readlane_b32 s82, v3, 25                                 // 00000000FEF4: D2890052 00013303
	s_lshr_b32 s61, s82, 24                                    // 00000000FEFC: 8F3D9852
	s_and_b32 s82, s82, 0xffffff                               // 00000000FF00: 8652FF52 00FFFFFF
	s_mul_i32 s82, s82, s71                                    // 00000000FF08: 92524752
	s_mul_i32 s61, s60, s61                                    // 00000000FF0C: 923D3D3C
	s_add_u32 s82, s82, s61                                    // 00000000FF10: 80523D52
	v_mul_lo_u32 v7, v4, s82                                   // 00000000FF14: D2850007 0000A504
	v_add_u32_e32 v74, v6, v7                                  // 00000000FF1C: 68940F06
	v_readlane_b32 s82, v3, 26                                 // 00000000FF20: D2890052 00013503
	s_lshr_b32 s61, s82, 24                                    // 00000000FF28: 8F3D9852
	s_and_b32 s82, s82, 0xffffff                               // 00000000FF2C: 8652FF52 00FFFFFF
	s_mul_i32 s82, s82, s71                                    // 00000000FF34: 92524752
	s_mul_i32 s61, s60, s61                                    // 00000000FF38: 923D3D3C
	s_add_u32 s82, s82, s61                                    // 00000000FF3C: 80523D52
	v_mul_lo_u32 v6, v5, s82                                   // 00000000FF40: D2850006 0000A505
	v_readlane_b32 s82, v3, 27                                 // 00000000FF48: D2890052 00013703
	s_lshr_b32 s61, s82, 24                                    // 00000000FF50: 8F3D9852
	s_and_b32 s82, s82, 0xffffff                               // 00000000FF54: 8652FF52 00FFFFFF
	s_mul_i32 s82, s82, s71                                    // 00000000FF5C: 92524752
	s_mul_i32 s61, s60, s61                                    // 00000000FF60: 923D3D3C
	s_add_u32 s82, s82, s61                                    // 00000000FF64: 80523D52
	v_mul_lo_u32 v7, v4, s82                                   // 00000000FF68: D2850007 0000A504
	v_add_u32_e32 v75, v6, v7                                  // 00000000FF70: 68960F06
	v_readlane_b32 s82, v3, 28                                 // 00000000FF74: D2890052 00013903
	s_lshr_b32 s61, s82, 24                                    // 00000000FF7C: 8F3D9852
	s_and_b32 s82, s82, 0xffffff                               // 00000000FF80: 8652FF52 00FFFFFF
	s_mul_i32 s82, s82, s71                                    // 00000000FF88: 92524752
	s_mul_i32 s61, s60, s61                                    // 00000000FF8C: 923D3D3C
	s_add_u32 s82, s82, s61                                    // 00000000FF90: 80523D52
	v_mul_lo_u32 v6, v5, s82                                   // 00000000FF94: D2850006 0000A505
	v_readlane_b32 s82, v3, 29                                 // 00000000FF9C: D2890052 00013B03
	s_lshr_b32 s61, s82, 24                                    // 00000000FFA4: 8F3D9852
	s_and_b32 s82, s82, 0xffffff                               // 00000000FFA8: 8652FF52 00FFFFFF
	s_mul_i32 s82, s82, s71                                    // 00000000FFB0: 92524752
	s_mul_i32 s61, s60, s61                                    // 00000000FFB4: 923D3D3C
	s_add_u32 s82, s82, s61                                    // 00000000FFB8: 80523D52
	v_mul_lo_u32 v7, v4, s82                                   // 00000000FFBC: D2850007 0000A504
	v_add_u32_e32 v76, v6, v7                                  // 00000000FFC4: 68980F06
	v_readlane_b32 s82, v3, 30                                 // 00000000FFC8: D2890052 00013D03
	s_lshr_b32 s61, s82, 24                                    // 00000000FFD0: 8F3D9852
	s_and_b32 s82, s82, 0xffffff                               // 00000000FFD4: 8652FF52 00FFFFFF
	s_mul_i32 s82, s82, s71                                    // 00000000FFDC: 92524752
	s_mul_i32 s61, s60, s61                                    // 00000000FFE0: 923D3D3C
	s_add_u32 s82, s82, s61                                    // 00000000FFE4: 80523D52
	v_mul_lo_u32 v6, v5, s82                                   // 00000000FFE8: D2850006 0000A505
	v_readlane_b32 s82, v3, 31                                 // 00000000FFF0: D2890052 00013F03
	s_lshr_b32 s61, s82, 24                                    // 00000000FFF8: 8F3D9852
	s_and_b32 s82, s82, 0xffffff                               // 00000000FFFC: 8652FF52 00FFFFFF
	s_mul_i32 s82, s82, s71                                    // 000000010004: 92524752
	s_mul_i32 s61, s60, s61                                    // 000000010008: 923D3D3C
	s_add_u32 s82, s82, s61                                    // 00000001000C: 80523D52
	v_mul_lo_u32 v7, v4, s82                                   // 000000010010: D2850007 0000A504
	v_add_u32_e32 v77, v6, v7                                  // 000000010018: 689A0F06
	v_and_b32_e32 v4, 31, v0                                   // 00000001001C: 2608009F
	v_lshrrev_b32_e32 v4, 1, v4                                // 000000010020: 20080881
	s_cmp_eq_u32 s88, 0                                        // 000000010024: BF068058
	s_cselect_b32 s61, 2, 4                                    // 000000010028: 853D8482
	v_mul_lo_u32 v4, v4, s61                                   // 00000001002C: D2850004 00007B04
	v_and_b32_e64 v5, v0, 1                                    // 000000010034: D1130005 00010300
	v_add_u32_e32 v4, v4, v5                                   // 00000001003C: 68080B04
	v_lshlrev_b32_e32 v4, 2, v4                                // 000000010040: 24080882
	v_add_u32_e32 v62, v62, v4                                 // 000000010044: 687C093E
	v_add_u32_e32 v63, v63, v4                                 // 000000010048: 687E093F
	v_add_u32_e32 v64, v64, v4                                 // 00000001004C: 68800940
	v_add_u32_e32 v65, v65, v4                                 // 000000010050: 68820941
	v_add_u32_e32 v66, v66, v4                                 // 000000010054: 68840942
	v_add_u32_e32 v67, v67, v4                                 // 000000010058: 68860943
	v_add_u32_e32 v68, v68, v4                                 // 00000001005C: 68880944
	v_add_u32_e32 v69, v69, v4                                 // 000000010060: 688A0945
	v_add_u32_e32 v70, v70, v4                                 // 000000010064: 688C0946
	v_add_u32_e32 v71, v71, v4                                 // 000000010068: 688E0947
	v_add_u32_e32 v72, v72, v4                                 // 00000001006C: 68900948
	v_add_u32_e32 v73, v73, v4                                 // 000000010070: 68920949
	v_add_u32_e32 v74, v74, v4                                 // 000000010074: 6894094A
	v_add_u32_e32 v75, v75, v4                                 // 000000010078: 6896094B
	v_add_u32_e32 v76, v76, v4                                 // 00000001007C: 6898094C
	v_add_u32_e32 v77, v77, v4                                 // 000000010080: 689A094D
	s_waitcnt lgkmcnt(0)                                       // 000000010084: BF8CC07F
	s_barrier                                                  // 000000010088: BF8A0000
	ds_read_b32 v80, v21                                       // 00000001008C: D86C0000 50000015
	ds_read_b32 v81, v21 offset:64                             // 000000010094: D86C0040 51000015
	ds_read_b32 v84, v21 offset:2176                           // 00000001009C: D86C0880 54000015
	ds_read_b32 v85, v21 offset:2240                           // 0000000100A4: D86C08C0 55000015
	ds_read_b32 v88, v21 offset:4352                           // 0000000100AC: D86C1100 58000015
	ds_read_b32 v89, v21 offset:4416                           // 0000000100B4: D86C1140 59000015
	ds_read_b32 v92, v21 offset:6528                           // 0000000100BC: D86C1980 5C000015
	ds_read_b32 v93, v21 offset:6592                           // 0000000100C4: D86C19C0 5D000015
	ds_read_b32 v96, v21 offset:8704                           // 0000000100CC: D86C2200 60000015
	ds_read_b32 v97, v21 offset:8768                           // 0000000100D4: D86C2240 61000015
	ds_read_b32 v100, v21 offset:10880                         // 0000000100DC: D86C2A80 64000015
	ds_read_b32 v101, v21 offset:10944                         // 0000000100E4: D86C2AC0 65000015
	ds_read_b32 v104, v21 offset:13056                         // 0000000100EC: D86C3300 68000015
	ds_read_b32 v105, v21 offset:13120                         // 0000000100F4: D86C3340 69000015
	ds_read_b32 v108, v21 offset:15232                         // 0000000100FC: D86C3B80 6C000015
	ds_read_b32 v109, v21 offset:15296                         // 000000010104: D86C3BC0 6D000015
	ds_read_b32 v112, v21 offset:17408                         // 00000001010C: D86C4400 70000015
	ds_read_b32 v113, v21 offset:17472                         // 000000010114: D86C4440 71000015
	ds_read_b32 v116, v21 offset:19584                         // 00000001011C: D86C4C80 74000015
	ds_read_b32 v117, v21 offset:19648                         // 000000010124: D86C4CC0 75000015
	ds_read_b32 v120, v21 offset:21760                         // 00000001012C: D86C5500 78000015
	ds_read_b32 v121, v21 offset:21824                         // 000000010134: D86C5540 79000015
	ds_read_b32 v124, v21 offset:23936                         // 00000001013C: D86C5D80 7C000015
	ds_read_b32 v125, v21 offset:24000                         // 000000010144: D86C5DC0 7D000015
	ds_read_b32 v128, v21 offset:26112                         // 00000001014C: D86C6600 80000015
	ds_read_b32 v129, v21 offset:26176                         // 000000010154: D86C6640 81000015
	ds_read_b32 v132, v21 offset:28288                         // 00000001015C: D86C6E80 84000015
	ds_read_b32 v133, v21 offset:28352                         // 000000010164: D86C6EC0 85000015
	ds_read_b32 v136, v21 offset:30464                         // 00000001016C: D86C7700 88000015
	ds_read_b32 v137, v21 offset:30528                         // 000000010174: D86C7740 89000015
	ds_read_b32 v140, v21 offset:32640                         // 00000001017C: D86C7F80 8C000015
	ds_read_b32 v141, v21 offset:32704                         // 000000010184: D86C7FC0 8D000015
	s_waitcnt lgkmcnt(0)                                       // 00000001018C: BF8CC07F
	s_mov_b32 s36, -1                                          // 000000010190: BEA400C1
	s_mov_b32 s37, -1                                          // 000000010194: BEA500C1
	v_mov_b32_e32 v7, 0                                        // 000000010198: 7E0E0280
	s_mov_b64 exec, s[36:37]                                   // 00000001019C: BEFE0124
	v_mov_b32_e32 v6, v62                                      // 0000000101A0: 7E0C033E
	s_mov_b64 s[60:61], 0                                      // 0000000101A4: BEBC0180
	v_readlane_b32 s82, v3, 0                                  // 0000000101A8: D2890052 00010103
	s_and_b32 s82, s82, 0xffffff                               // 0000000101B0: 8652FF52 00FFFFFF
	s_cmp_lt_u32 s82, s66                                      // 0000000101B8: BF0A4252
	s_cselect_b32 s20, s36, s60                                // 0000000101BC: 85143C24
	v_readlane_b32 s82, v3, 1                                  // 0000000101C0: D2890052 00010303
	s_and_b32 s82, s82, 0xffffff                               // 0000000101C8: 8652FF52 00FFFFFF
	s_cmp_lt_u32 s82, s66                                      // 0000000101D0: BF0A4252
	s_cselect_b32 s21, s36, s60                                // 0000000101D4: 85153C24
	s_mov_b64 exec, s[20:21]                                   // 0000000101D8: BEFE0114
	global_atomic_add_f32 v6, v80, s[8:9]                      // 0000000101DC: DD348000 00085006
	global_atomic_add_f32 v6, v84, s[8:9] offset:256           // 0000000101E4: DD348100 00085406
	s_mov_b64 exec, s[36:37]                                   // 0000000101EC: BEFE0124
	v_mov_b32_e32 v6, v63                                      // 0000000101F0: 7E0C033F
	s_mov_b64 s[60:61], 0                                      // 0000000101F4: BEBC0180
	v_readlane_b32 s82, v3, 2                                  // 0000000101F8: D2890052 00010503
	s_and_b32 s82, s82, 0xffffff                               // 000000010200: 8652FF52 00FFFFFF
	s_cmp_lt_u32 s82, s66                                      // 000000010208: BF0A4252
	s_cselect_b32 s20, s36, s60                                // 00000001020C: 85143C24
	v_readlane_b32 s82, v3, 3                                  // 000000010210: D2890052 00010703
	s_and_b32 s82, s82, 0xffffff                               // 000000010218: 8652FF52 00FFFFFF
	s_cmp_lt_u32 s82, s66                                      // 000000010220: BF0A4252
	s_cselect_b32 s21, s36, s60                                // 000000010224: 85153C24
	s_mov_b64 exec, s[20:21]                                   // 000000010228: BEFE0114
	global_atomic_add_f32 v6, v81, s[8:9]                      // 00000001022C: DD348000 00085106
	global_atomic_add_f32 v6, v85, s[8:9] offset:256           // 000000010234: DD348100 00085506
	s_mov_b64 exec, s[36:37]                                   // 00000001023C: BEFE0124
	v_mov_b32_e32 v6, v64                                      // 000000010240: 7E0C0340
	s_mov_b64 s[60:61], 0                                      // 000000010244: BEBC0180
	v_readlane_b32 s82, v3, 4                                  // 000000010248: D2890052 00010903
	s_and_b32 s82, s82, 0xffffff                               // 000000010250: 8652FF52 00FFFFFF
	s_cmp_lt_u32 s82, s66                                      // 000000010258: BF0A4252
	s_cselect_b32 s20, s36, s60                                // 00000001025C: 85143C24
	v_readlane_b32 s82, v3, 5                                  // 000000010260: D2890052 00010B03
	s_and_b32 s82, s82, 0xffffff                               // 000000010268: 8652FF52 00FFFFFF
	s_cmp_lt_u32 s82, s66                                      // 000000010270: BF0A4252
	s_cselect_b32 s21, s36, s60                                // 000000010274: 85153C24
	s_mov_b64 exec, s[20:21]                                   // 000000010278: BEFE0114
	global_atomic_add_f32 v6, v88, s[8:9]                      // 00000001027C: DD348000 00085806
	global_atomic_add_f32 v6, v92, s[8:9] offset:256           // 000000010284: DD348100 00085C06
	s_mov_b64 exec, s[36:37]                                   // 00000001028C: BEFE0124
	v_mov_b32_e32 v6, v65                                      // 000000010290: 7E0C0341
	s_mov_b64 s[60:61], 0                                      // 000000010294: BEBC0180
	v_readlane_b32 s82, v3, 6                                  // 000000010298: D2890052 00010D03
	s_and_b32 s82, s82, 0xffffff                               // 0000000102A0: 8652FF52 00FFFFFF
	s_cmp_lt_u32 s82, s66                                      // 0000000102A8: BF0A4252
	s_cselect_b32 s20, s36, s60                                // 0000000102AC: 85143C24
	v_readlane_b32 s82, v3, 7                                  // 0000000102B0: D2890052 00010F03
	s_and_b32 s82, s82, 0xffffff                               // 0000000102B8: 8652FF52 00FFFFFF
	s_cmp_lt_u32 s82, s66                                      // 0000000102C0: BF0A4252
	s_cselect_b32 s21, s36, s60                                // 0000000102C4: 85153C24
	s_mov_b64 exec, s[20:21]                                   // 0000000102C8: BEFE0114
	global_atomic_add_f32 v6, v89, s[8:9]                      // 0000000102CC: DD348000 00085906
	global_atomic_add_f32 v6, v93, s[8:9] offset:256           // 0000000102D4: DD348100 00085D06
	s_mov_b64 exec, s[36:37]                                   // 0000000102DC: BEFE0124
	v_mov_b32_e32 v6, v66                                      // 0000000102E0: 7E0C0342
	s_mov_b64 s[60:61], 0                                      // 0000000102E4: BEBC0180
	v_readlane_b32 s82, v3, 8                                  // 0000000102E8: D2890052 00011103
	s_and_b32 s82, s82, 0xffffff                               // 0000000102F0: 8652FF52 00FFFFFF
	s_cmp_lt_u32 s82, s66                                      // 0000000102F8: BF0A4252
	s_cselect_b32 s20, s36, s60                                // 0000000102FC: 85143C24
	v_readlane_b32 s82, v3, 9                                  // 000000010300: D2890052 00011303
	s_and_b32 s82, s82, 0xffffff                               // 000000010308: 8652FF52 00FFFFFF
	s_cmp_lt_u32 s82, s66                                      // 000000010310: BF0A4252
	s_cselect_b32 s21, s36, s60                                // 000000010314: 85153C24
	s_mov_b64 exec, s[20:21]                                   // 000000010318: BEFE0114
	global_atomic_add_f32 v6, v96, s[8:9]                      // 00000001031C: DD348000 00086006
	global_atomic_add_f32 v6, v100, s[8:9] offset:256          // 000000010324: DD348100 00086406
	s_mov_b64 exec, s[36:37]                                   // 00000001032C: BEFE0124
	v_mov_b32_e32 v6, v67                                      // 000000010330: 7E0C0343
	s_mov_b64 s[60:61], 0                                      // 000000010334: BEBC0180
	v_readlane_b32 s82, v3, 10                                 // 000000010338: D2890052 00011503
	s_and_b32 s82, s82, 0xffffff                               // 000000010340: 8652FF52 00FFFFFF
	s_cmp_lt_u32 s82, s66                                      // 000000010348: BF0A4252
	s_cselect_b32 s20, s36, s60                                // 00000001034C: 85143C24
	v_readlane_b32 s82, v3, 11                                 // 000000010350: D2890052 00011703
	s_and_b32 s82, s82, 0xffffff                               // 000000010358: 8652FF52 00FFFFFF
	s_cmp_lt_u32 s82, s66                                      // 000000010360: BF0A4252
	s_cselect_b32 s21, s36, s60                                // 000000010364: 85153C24
	s_mov_b64 exec, s[20:21]                                   // 000000010368: BEFE0114
	global_atomic_add_f32 v6, v97, s[8:9]                      // 00000001036C: DD348000 00086106
	global_atomic_add_f32 v6, v101, s[8:9] offset:256          // 000000010374: DD348100 00086506
	s_mov_b64 exec, s[36:37]                                   // 00000001037C: BEFE0124
	v_mov_b32_e32 v6, v68                                      // 000000010380: 7E0C0344
	s_mov_b64 s[60:61], 0                                      // 000000010384: BEBC0180
	v_readlane_b32 s82, v3, 12                                 // 000000010388: D2890052 00011903
	s_and_b32 s82, s82, 0xffffff                               // 000000010390: 8652FF52 00FFFFFF
	s_cmp_lt_u32 s82, s66                                      // 000000010398: BF0A4252
	s_cselect_b32 s20, s36, s60                                // 00000001039C: 85143C24
	v_readlane_b32 s82, v3, 13                                 // 0000000103A0: D2890052 00011B03
	s_and_b32 s82, s82, 0xffffff                               // 0000000103A8: 8652FF52 00FFFFFF
	s_cmp_lt_u32 s82, s66                                      // 0000000103B0: BF0A4252
	s_cselect_b32 s21, s36, s60                                // 0000000103B4: 85153C24
	s_mov_b64 exec, s[20:21]                                   // 0000000103B8: BEFE0114
	global_atomic_add_f32 v6, v104, s[8:9]                     // 0000000103BC: DD348000 00086806
	global_atomic_add_f32 v6, v108, s[8:9] offset:256          // 0000000103C4: DD348100 00086C06
	s_mov_b64 exec, s[36:37]                                   // 0000000103CC: BEFE0124
	v_mov_b32_e32 v6, v69                                      // 0000000103D0: 7E0C0345
	s_mov_b64 s[60:61], 0                                      // 0000000103D4: BEBC0180
	v_readlane_b32 s82, v3, 14                                 // 0000000103D8: D2890052 00011D03
	s_and_b32 s82, s82, 0xffffff                               // 0000000103E0: 8652FF52 00FFFFFF
	s_cmp_lt_u32 s82, s66                                      // 0000000103E8: BF0A4252
	s_cselect_b32 s20, s36, s60                                // 0000000103EC: 85143C24
	v_readlane_b32 s82, v3, 15                                 // 0000000103F0: D2890052 00011F03
	s_and_b32 s82, s82, 0xffffff                               // 0000000103F8: 8652FF52 00FFFFFF
	s_cmp_lt_u32 s82, s66                                      // 000000010400: BF0A4252
	s_cselect_b32 s21, s36, s60                                // 000000010404: 85153C24
	s_mov_b64 exec, s[20:21]                                   // 000000010408: BEFE0114
	global_atomic_add_f32 v6, v105, s[8:9]                     // 00000001040C: DD348000 00086906
	global_atomic_add_f32 v6, v109, s[8:9] offset:256          // 000000010414: DD348100 00086D06
	s_mov_b64 exec, s[36:37]                                   // 00000001041C: BEFE0124
	v_mov_b32_e32 v6, v70                                      // 000000010420: 7E0C0346
	s_mov_b64 s[60:61], 0                                      // 000000010424: BEBC0180
	v_readlane_b32 s82, v3, 16                                 // 000000010428: D2890052 00012103
	s_and_b32 s82, s82, 0xffffff                               // 000000010430: 8652FF52 00FFFFFF
	s_cmp_lt_u32 s82, s66                                      // 000000010438: BF0A4252
	s_cselect_b32 s20, s36, s60                                // 00000001043C: 85143C24
	v_readlane_b32 s82, v3, 17                                 // 000000010440: D2890052 00012303
	s_and_b32 s82, s82, 0xffffff                               // 000000010448: 8652FF52 00FFFFFF
	s_cmp_lt_u32 s82, s66                                      // 000000010450: BF0A4252
	s_cselect_b32 s21, s36, s60                                // 000000010454: 85153C24
	s_mov_b64 exec, s[20:21]                                   // 000000010458: BEFE0114
	global_atomic_add_f32 v6, v112, s[8:9]                     // 00000001045C: DD348000 00087006
	global_atomic_add_f32 v6, v116, s[8:9] offset:256          // 000000010464: DD348100 00087406
	s_mov_b64 exec, s[36:37]                                   // 00000001046C: BEFE0124
	v_mov_b32_e32 v6, v71                                      // 000000010470: 7E0C0347
	s_mov_b64 s[60:61], 0                                      // 000000010474: BEBC0180
	v_readlane_b32 s82, v3, 18                                 // 000000010478: D2890052 00012503
	s_and_b32 s82, s82, 0xffffff                               // 000000010480: 8652FF52 00FFFFFF
	s_cmp_lt_u32 s82, s66                                      // 000000010488: BF0A4252
	s_cselect_b32 s20, s36, s60                                // 00000001048C: 85143C24
	v_readlane_b32 s82, v3, 19                                 // 000000010490: D2890052 00012703
	s_and_b32 s82, s82, 0xffffff                               // 000000010498: 8652FF52 00FFFFFF
	s_cmp_lt_u32 s82, s66                                      // 0000000104A0: BF0A4252
	s_cselect_b32 s21, s36, s60                                // 0000000104A4: 85153C24
	s_mov_b64 exec, s[20:21]                                   // 0000000104A8: BEFE0114
	global_atomic_add_f32 v6, v113, s[8:9]                     // 0000000104AC: DD348000 00087106
	global_atomic_add_f32 v6, v117, s[8:9] offset:256          // 0000000104B4: DD348100 00087506
	s_mov_b64 exec, s[36:37]                                   // 0000000104BC: BEFE0124
	v_mov_b32_e32 v6, v72                                      // 0000000104C0: 7E0C0348
	s_mov_b64 s[60:61], 0                                      // 0000000104C4: BEBC0180
	v_readlane_b32 s82, v3, 20                                 // 0000000104C8: D2890052 00012903
	s_and_b32 s82, s82, 0xffffff                               // 0000000104D0: 8652FF52 00FFFFFF
	s_cmp_lt_u32 s82, s66                                      // 0000000104D8: BF0A4252
	s_cselect_b32 s20, s36, s60                                // 0000000104DC: 85143C24
	v_readlane_b32 s82, v3, 21                                 // 0000000104E0: D2890052 00012B03
	s_and_b32 s82, s82, 0xffffff                               // 0000000104E8: 8652FF52 00FFFFFF
	s_cmp_lt_u32 s82, s66                                      // 0000000104F0: BF0A4252
	s_cselect_b32 s21, s36, s60                                // 0000000104F4: 85153C24
	s_mov_b64 exec, s[20:21]                                   // 0000000104F8: BEFE0114
	global_atomic_add_f32 v6, v120, s[8:9]                     // 0000000104FC: DD348000 00087806
	global_atomic_add_f32 v6, v124, s[8:9] offset:256          // 000000010504: DD348100 00087C06
	s_mov_b64 exec, s[36:37]                                   // 00000001050C: BEFE0124
	v_mov_b32_e32 v6, v73                                      // 000000010510: 7E0C0349
	s_mov_b64 s[60:61], 0                                      // 000000010514: BEBC0180
	v_readlane_b32 s82, v3, 22                                 // 000000010518: D2890052 00012D03
	s_and_b32 s82, s82, 0xffffff                               // 000000010520: 8652FF52 00FFFFFF
	s_cmp_lt_u32 s82, s66                                      // 000000010528: BF0A4252
	s_cselect_b32 s20, s36, s60                                // 00000001052C: 85143C24
	v_readlane_b32 s82, v3, 23                                 // 000000010530: D2890052 00012F03
	s_and_b32 s82, s82, 0xffffff                               // 000000010538: 8652FF52 00FFFFFF
	s_cmp_lt_u32 s82, s66                                      // 000000010540: BF0A4252
	s_cselect_b32 s21, s36, s60                                // 000000010544: 85153C24
	s_mov_b64 exec, s[20:21]                                   // 000000010548: BEFE0114
	global_atomic_add_f32 v6, v121, s[8:9]                     // 00000001054C: DD348000 00087906
	global_atomic_add_f32 v6, v125, s[8:9] offset:256          // 000000010554: DD348100 00087D06
	s_mov_b64 exec, s[36:37]                                   // 00000001055C: BEFE0124
	v_mov_b32_e32 v6, v74                                      // 000000010560: 7E0C034A
	s_mov_b64 s[60:61], 0                                      // 000000010564: BEBC0180
	v_readlane_b32 s82, v3, 24                                 // 000000010568: D2890052 00013103
	s_and_b32 s82, s82, 0xffffff                               // 000000010570: 8652FF52 00FFFFFF
	s_cmp_lt_u32 s82, s66                                      // 000000010578: BF0A4252
	s_cselect_b32 s20, s36, s60                                // 00000001057C: 85143C24
	v_readlane_b32 s82, v3, 25                                 // 000000010580: D2890052 00013303
	s_and_b32 s82, s82, 0xffffff                               // 000000010588: 8652FF52 00FFFFFF
	s_cmp_lt_u32 s82, s66                                      // 000000010590: BF0A4252
	s_cselect_b32 s21, s36, s60                                // 000000010594: 85153C24
	s_mov_b64 exec, s[20:21]                                   // 000000010598: BEFE0114
	global_atomic_add_f32 v6, v128, s[8:9]                     // 00000001059C: DD348000 00088006
	global_atomic_add_f32 v6, v132, s[8:9] offset:256          // 0000000105A4: DD348100 00088406
	s_mov_b64 exec, s[36:37]                                   // 0000000105AC: BEFE0124
	v_mov_b32_e32 v6, v75                                      // 0000000105B0: 7E0C034B
	s_mov_b64 s[60:61], 0                                      // 0000000105B4: BEBC0180
	v_readlane_b32 s82, v3, 26                                 // 0000000105B8: D2890052 00013503
	s_and_b32 s82, s82, 0xffffff                               // 0000000105C0: 8652FF52 00FFFFFF
	s_cmp_lt_u32 s82, s66                                      // 0000000105C8: BF0A4252
	s_cselect_b32 s20, s36, s60                                // 0000000105CC: 85143C24
	v_readlane_b32 s82, v3, 27                                 // 0000000105D0: D2890052 00013703
	s_and_b32 s82, s82, 0xffffff                               // 0000000105D8: 8652FF52 00FFFFFF
	s_cmp_lt_u32 s82, s66                                      // 0000000105E0: BF0A4252
	s_cselect_b32 s21, s36, s60                                // 0000000105E4: 85153C24
	s_mov_b64 exec, s[20:21]                                   // 0000000105E8: BEFE0114
	global_atomic_add_f32 v6, v129, s[8:9]                     // 0000000105EC: DD348000 00088106
	global_atomic_add_f32 v6, v133, s[8:9] offset:256          // 0000000105F4: DD348100 00088506
	s_mov_b64 exec, s[36:37]                                   // 0000000105FC: BEFE0124
	v_mov_b32_e32 v6, v76                                      // 000000010600: 7E0C034C
	s_mov_b64 s[60:61], 0                                      // 000000010604: BEBC0180
	v_readlane_b32 s82, v3, 28                                 // 000000010608: D2890052 00013903
	s_and_b32 s82, s82, 0xffffff                               // 000000010610: 8652FF52 00FFFFFF
	s_cmp_lt_u32 s82, s66                                      // 000000010618: BF0A4252
	s_cselect_b32 s20, s36, s60                                // 00000001061C: 85143C24
	v_readlane_b32 s82, v3, 29                                 // 000000010620: D2890052 00013B03
	s_and_b32 s82, s82, 0xffffff                               // 000000010628: 8652FF52 00FFFFFF
	s_cmp_lt_u32 s82, s66                                      // 000000010630: BF0A4252
	s_cselect_b32 s21, s36, s60                                // 000000010634: 85153C24
	s_mov_b64 exec, s[20:21]                                   // 000000010638: BEFE0114
	global_atomic_add_f32 v6, v136, s[8:9]                     // 00000001063C: DD348000 00088806
	global_atomic_add_f32 v6, v140, s[8:9] offset:256          // 000000010644: DD348100 00088C06
	s_mov_b64 exec, s[36:37]                                   // 00000001064C: BEFE0124
	v_mov_b32_e32 v6, v77                                      // 000000010650: 7E0C034D
	s_mov_b64 s[60:61], 0                                      // 000000010654: BEBC0180
	v_readlane_b32 s82, v3, 30                                 // 000000010658: D2890052 00013D03
	s_and_b32 s82, s82, 0xffffff                               // 000000010660: 8652FF52 00FFFFFF
	s_cmp_lt_u32 s82, s66                                      // 000000010668: BF0A4252
	s_cselect_b32 s20, s36, s60                                // 00000001066C: 85143C24
	v_readlane_b32 s82, v3, 31                                 // 000000010670: D2890052 00013F03
	s_and_b32 s82, s82, 0xffffff                               // 000000010678: 8652FF52 00FFFFFF
	s_cmp_lt_u32 s82, s66                                      // 000000010680: BF0A4252
	s_cselect_b32 s21, s36, s60                                // 000000010684: 85153C24
	s_mov_b64 exec, s[20:21]                                   // 000000010688: BEFE0114
	global_atomic_add_f32 v6, v137, s[8:9]                     // 00000001068C: DD348000 00088906
	global_atomic_add_f32 v6, v141, s[8:9] offset:256          // 000000010694: DD348100 00088D06
	s_mov_b64 exec, s[36:37]                                   // 00000001069C: BEFE0124
	ds_write_b64 v20, v[82:83]                                 // 0000000106A0: D89A0000 00005214
	ds_write_b64 v20, v[86:87] offset:4352                     // 0000000106A8: D89A1100 00005614
	ds_write_b64 v20, v[90:91] offset:8704                     // 0000000106B0: D89A2200 00005A14
	ds_write_b64 v20, v[94:95] offset:13056                    // 0000000106B8: D89A3300 00005E14
	ds_write_b64 v20, v[98:99] offset:17408                    // 0000000106C0: D89A4400 00006214
	ds_write_b64 v20, v[102:103] offset:21760                  // 0000000106C8: D89A5500 00006614
	ds_write_b64 v20, v[106:107] offset:26112                  // 0000000106D0: D89A6600 00006A14
	ds_write_b64 v20, v[110:111] offset:30464                  // 0000000106D8: D89A7700 00006E14
	ds_write_b64 v20, v[114:115] offset:2176                   // 0000000106E0: D89A0880 00007214
	ds_write_b64 v20, v[118:119] offset:6528                   // 0000000106E8: D89A1980 00007614
	ds_write_b64 v20, v[122:123] offset:10880                  // 0000000106F0: D89A2A80 00007A14
	ds_write_b64 v20, v[126:127] offset:15232                  // 0000000106F8: D89A3B80 00007E14
	ds_write_b64 v20, v[130:131] offset:19584                  // 000000010700: D89A4C80 00008214
	ds_write_b64 v20, v[134:135] offset:23936                  // 000000010708: D89A5D80 00008614
	ds_write_b64 v20, v[138:139] offset:28288                  // 000000010710: D89A6E80 00008A14
	ds_write_b64 v20, v[142:143] offset:32640                  // 000000010718: D89A7F80 00008E14
	s_waitcnt lgkmcnt(0)                                       // 000000010720: BF8CC07F
	s_barrier                                                  // 000000010724: BF8A0000
	ds_read_b32 v82, v21                                       // 000000010728: D86C0000 52000015
	ds_read_b32 v83, v21 offset:64                             // 000000010730: D86C0040 53000015
	ds_read_b32 v86, v21 offset:2176                           // 000000010738: D86C0880 56000015
	ds_read_b32 v87, v21 offset:2240                           // 000000010740: D86C08C0 57000015
	ds_read_b32 v90, v21 offset:4352                           // 000000010748: D86C1100 5A000015
	ds_read_b32 v91, v21 offset:4416                           // 000000010750: D86C1140 5B000015
	ds_read_b32 v94, v21 offset:6528                           // 000000010758: D86C1980 5E000015
	ds_read_b32 v95, v21 offset:6592                           // 000000010760: D86C19C0 5F000015
	ds_read_b32 v98, v21 offset:8704                           // 000000010768: D86C2200 62000015
	ds_read_b32 v99, v21 offset:8768                           // 000000010770: D86C2240 63000015
	ds_read_b32 v102, v21 offset:10880                         // 000000010778: D86C2A80 66000015
	ds_read_b32 v103, v21 offset:10944                         // 000000010780: D86C2AC0 67000015
	ds_read_b32 v106, v21 offset:13056                         // 000000010788: D86C3300 6A000015
	ds_read_b32 v107, v21 offset:13120                         // 000000010790: D86C3340 6B000015
	ds_read_b32 v110, v21 offset:15232                         // 000000010798: D86C3B80 6E000015
	ds_read_b32 v111, v21 offset:15296                         // 0000000107A0: D86C3BC0 6F000015
	ds_read_b32 v114, v21 offset:17408                         // 0000000107A8: D86C4400 72000015
	ds_read_b32 v115, v21 offset:17472                         // 0000000107B0: D86C4440 73000015
	ds_read_b32 v118, v21 offset:19584                         // 0000000107B8: D86C4C80 76000015
	ds_read_b32 v119, v21 offset:19648                         // 0000000107C0: D86C4CC0 77000015
	ds_read_b32 v122, v21 offset:21760                         // 0000000107C8: D86C5500 7A000015
	ds_read_b32 v123, v21 offset:21824                         // 0000000107D0: D86C5540 7B000015
	ds_read_b32 v126, v21 offset:23936                         // 0000000107D8: D86C5D80 7E000015
	ds_read_b32 v127, v21 offset:24000                         // 0000000107E0: D86C5DC0 7F000015
	ds_read_b32 v130, v21 offset:26112                         // 0000000107E8: D86C6600 82000015
	ds_read_b32 v131, v21 offset:26176                         // 0000000107F0: D86C6640 83000015
	ds_read_b32 v134, v21 offset:28288                         // 0000000107F8: D86C6E80 86000015
	ds_read_b32 v135, v21 offset:28352                         // 000000010800: D86C6EC0 87000015
	ds_read_b32 v138, v21 offset:30464                         // 000000010808: D86C7700 8A000015
	ds_read_b32 v139, v21 offset:30528                         // 000000010810: D86C7740 8B000015
	ds_read_b32 v142, v21 offset:32640                         // 000000010818: D86C7F80 8E000015
	ds_read_b32 v143, v21 offset:32704                         // 000000010820: D86C7FC0 8F000015
	s_waitcnt lgkmcnt(0)                                       // 000000010828: BF8CC07F
	v_mov_b32_e32 v7, 0                                        // 00000001082C: 7E0E0280
	s_mov_b64 exec, s[36:37]                                   // 000000010830: BEFE0124
	v_mov_b32_e32 v6, v62                                      // 000000010834: 7E0C033E
	s_mov_b64 s[60:61], 0                                      // 000000010838: BEBC0180
	v_readlane_b32 s82, v3, 0                                  // 00000001083C: D2890052 00010103
	s_and_b32 s82, s82, 0xffffff                               // 000000010844: 8652FF52 00FFFFFF
	s_cmp_lt_u32 s82, s66                                      // 00000001084C: BF0A4252
	s_cselect_b32 s20, s36, s60                                // 000000010850: 85143C24
	v_readlane_b32 s82, v3, 1                                  // 000000010854: D2890052 00010303
	s_and_b32 s82, s82, 0xffffff                               // 00000001085C: 8652FF52 00FFFFFF
	s_cmp_lt_u32 s82, s66                                      // 000000010864: BF0A4252
	s_cselect_b32 s21, s36, s60                                // 000000010868: 85153C24
	s_mov_b64 exec, s[20:21]                                   // 00000001086C: BEFE0114
	global_atomic_add_f32 v6, v82, s[8:9] offset:8             // 000000010870: DD348008 00085206
	global_atomic_add_f32 v6, v86, s[8:9] offset:264           // 000000010878: DD348108 00085606
	s_mov_b64 exec, s[36:37]                                   // 000000010880: BEFE0124
	v_mov_b32_e32 v6, v63                                      // 000000010884: 7E0C033F
	s_mov_b64 s[60:61], 0                                      // 000000010888: BEBC0180
	v_readlane_b32 s82, v3, 2                                  // 00000001088C: D2890052 00010503
	s_and_b32 s82, s82, 0xffffff                               // 000000010894: 8652FF52 00FFFFFF
	s_cmp_lt_u32 s82, s66                                      // 00000001089C: BF0A4252
	s_cselect_b32 s20, s36, s60                                // 0000000108A0: 85143C24
	v_readlane_b32 s82, v3, 3                                  // 0000000108A4: D2890052 00010703
	s_and_b32 s82, s82, 0xffffff                               // 0000000108AC: 8652FF52 00FFFFFF
	s_cmp_lt_u32 s82, s66                                      // 0000000108B4: BF0A4252
	s_cselect_b32 s21, s36, s60                                // 0000000108B8: 85153C24
	s_mov_b64 exec, s[20:21]                                   // 0000000108BC: BEFE0114
	global_atomic_add_f32 v6, v83, s[8:9] offset:8             // 0000000108C0: DD348008 00085306
	global_atomic_add_f32 v6, v87, s[8:9] offset:264           // 0000000108C8: DD348108 00085706
	s_mov_b64 exec, s[36:37]                                   // 0000000108D0: BEFE0124
	v_mov_b32_e32 v6, v64                                      // 0000000108D4: 7E0C0340
	s_mov_b64 s[60:61], 0                                      // 0000000108D8: BEBC0180
	v_readlane_b32 s82, v3, 4                                  // 0000000108DC: D2890052 00010903
	s_and_b32 s82, s82, 0xffffff                               // 0000000108E4: 8652FF52 00FFFFFF
	s_cmp_lt_u32 s82, s66                                      // 0000000108EC: BF0A4252
	s_cselect_b32 s20, s36, s60                                // 0000000108F0: 85143C24
	v_readlane_b32 s82, v3, 5                                  // 0000000108F4: D2890052 00010B03
	s_and_b32 s82, s82, 0xffffff                               // 0000000108FC: 8652FF52 00FFFFFF
	s_cmp_lt_u32 s82, s66                                      // 000000010904: BF0A4252
	s_cselect_b32 s21, s36, s60                                // 000000010908: 85153C24
	s_mov_b64 exec, s[20:21]                                   // 00000001090C: BEFE0114
	global_atomic_add_f32 v6, v90, s[8:9] offset:8             // 000000010910: DD348008 00085A06
	global_atomic_add_f32 v6, v94, s[8:9] offset:264           // 000000010918: DD348108 00085E06
	s_mov_b64 exec, s[36:37]                                   // 000000010920: BEFE0124
	v_mov_b32_e32 v6, v65                                      // 000000010924: 7E0C0341
	s_mov_b64 s[60:61], 0                                      // 000000010928: BEBC0180
	v_readlane_b32 s82, v3, 6                                  // 00000001092C: D2890052 00010D03
	s_and_b32 s82, s82, 0xffffff                               // 000000010934: 8652FF52 00FFFFFF
	s_cmp_lt_u32 s82, s66                                      // 00000001093C: BF0A4252
	s_cselect_b32 s20, s36, s60                                // 000000010940: 85143C24
	v_readlane_b32 s82, v3, 7                                  // 000000010944: D2890052 00010F03
	s_and_b32 s82, s82, 0xffffff                               // 00000001094C: 8652FF52 00FFFFFF
	s_cmp_lt_u32 s82, s66                                      // 000000010954: BF0A4252
	s_cselect_b32 s21, s36, s60                                // 000000010958: 85153C24
	s_mov_b64 exec, s[20:21]                                   // 00000001095C: BEFE0114
	global_atomic_add_f32 v6, v91, s[8:9] offset:8             // 000000010960: DD348008 00085B06
	global_atomic_add_f32 v6, v95, s[8:9] offset:264           // 000000010968: DD348108 00085F06
	s_mov_b64 exec, s[36:37]                                   // 000000010970: BEFE0124
	v_mov_b32_e32 v6, v66                                      // 000000010974: 7E0C0342
	s_mov_b64 s[60:61], 0                                      // 000000010978: BEBC0180
	v_readlane_b32 s82, v3, 8                                  // 00000001097C: D2890052 00011103
	s_and_b32 s82, s82, 0xffffff                               // 000000010984: 8652FF52 00FFFFFF
	s_cmp_lt_u32 s82, s66                                      // 00000001098C: BF0A4252
	s_cselect_b32 s20, s36, s60                                // 000000010990: 85143C24
	v_readlane_b32 s82, v3, 9                                  // 000000010994: D2890052 00011303
	s_and_b32 s82, s82, 0xffffff                               // 00000001099C: 8652FF52 00FFFFFF
	s_cmp_lt_u32 s82, s66                                      // 0000000109A4: BF0A4252
	s_cselect_b32 s21, s36, s60                                // 0000000109A8: 85153C24
	s_mov_b64 exec, s[20:21]                                   // 0000000109AC: BEFE0114
	global_atomic_add_f32 v6, v98, s[8:9] offset:8             // 0000000109B0: DD348008 00086206
	global_atomic_add_f32 v6, v102, s[8:9] offset:264          // 0000000109B8: DD348108 00086606
	s_mov_b64 exec, s[36:37]                                   // 0000000109C0: BEFE0124
	v_mov_b32_e32 v6, v67                                      // 0000000109C4: 7E0C0343
	s_mov_b64 s[60:61], 0                                      // 0000000109C8: BEBC0180
	v_readlane_b32 s82, v3, 10                                 // 0000000109CC: D2890052 00011503
	s_and_b32 s82, s82, 0xffffff                               // 0000000109D4: 8652FF52 00FFFFFF
	s_cmp_lt_u32 s82, s66                                      // 0000000109DC: BF0A4252
	s_cselect_b32 s20, s36, s60                                // 0000000109E0: 85143C24
	v_readlane_b32 s82, v3, 11                                 // 0000000109E4: D2890052 00011703
	s_and_b32 s82, s82, 0xffffff                               // 0000000109EC: 8652FF52 00FFFFFF
	s_cmp_lt_u32 s82, s66                                      // 0000000109F4: BF0A4252
	s_cselect_b32 s21, s36, s60                                // 0000000109F8: 85153C24
	s_mov_b64 exec, s[20:21]                                   // 0000000109FC: BEFE0114
	global_atomic_add_f32 v6, v99, s[8:9] offset:8             // 000000010A00: DD348008 00086306
	global_atomic_add_f32 v6, v103, s[8:9] offset:264          // 000000010A08: DD348108 00086706
	s_mov_b64 exec, s[36:37]                                   // 000000010A10: BEFE0124
	v_mov_b32_e32 v6, v68                                      // 000000010A14: 7E0C0344
	s_mov_b64 s[60:61], 0                                      // 000000010A18: BEBC0180
	v_readlane_b32 s82, v3, 12                                 // 000000010A1C: D2890052 00011903
	s_and_b32 s82, s82, 0xffffff                               // 000000010A24: 8652FF52 00FFFFFF
	s_cmp_lt_u32 s82, s66                                      // 000000010A2C: BF0A4252
	s_cselect_b32 s20, s36, s60                                // 000000010A30: 85143C24
	v_readlane_b32 s82, v3, 13                                 // 000000010A34: D2890052 00011B03
	s_and_b32 s82, s82, 0xffffff                               // 000000010A3C: 8652FF52 00FFFFFF
	s_cmp_lt_u32 s82, s66                                      // 000000010A44: BF0A4252
	s_cselect_b32 s21, s36, s60                                // 000000010A48: 85153C24
	s_mov_b64 exec, s[20:21]                                   // 000000010A4C: BEFE0114
	global_atomic_add_f32 v6, v106, s[8:9] offset:8            // 000000010A50: DD348008 00086A06
	global_atomic_add_f32 v6, v110, s[8:9] offset:264          // 000000010A58: DD348108 00086E06
	s_mov_b64 exec, s[36:37]                                   // 000000010A60: BEFE0124
	v_mov_b32_e32 v6, v69                                      // 000000010A64: 7E0C0345
	s_mov_b64 s[60:61], 0                                      // 000000010A68: BEBC0180
	v_readlane_b32 s82, v3, 14                                 // 000000010A6C: D2890052 00011D03
	s_and_b32 s82, s82, 0xffffff                               // 000000010A74: 8652FF52 00FFFFFF
	s_cmp_lt_u32 s82, s66                                      // 000000010A7C: BF0A4252
	s_cselect_b32 s20, s36, s60                                // 000000010A80: 85143C24
	v_readlane_b32 s82, v3, 15                                 // 000000010A84: D2890052 00011F03
	s_and_b32 s82, s82, 0xffffff                               // 000000010A8C: 8652FF52 00FFFFFF
	s_cmp_lt_u32 s82, s66                                      // 000000010A94: BF0A4252
	s_cselect_b32 s21, s36, s60                                // 000000010A98: 85153C24
	s_mov_b64 exec, s[20:21]                                   // 000000010A9C: BEFE0114
	global_atomic_add_f32 v6, v107, s[8:9] offset:8            // 000000010AA0: DD348008 00086B06
	global_atomic_add_f32 v6, v111, s[8:9] offset:264          // 000000010AA8: DD348108 00086F06
	s_mov_b64 exec, s[36:37]                                   // 000000010AB0: BEFE0124
	v_mov_b32_e32 v6, v70                                      // 000000010AB4: 7E0C0346
	s_mov_b64 s[60:61], 0                                      // 000000010AB8: BEBC0180
	v_readlane_b32 s82, v3, 16                                 // 000000010ABC: D2890052 00012103
	s_and_b32 s82, s82, 0xffffff                               // 000000010AC4: 8652FF52 00FFFFFF
	s_cmp_lt_u32 s82, s66                                      // 000000010ACC: BF0A4252
	s_cselect_b32 s20, s36, s60                                // 000000010AD0: 85143C24
	v_readlane_b32 s82, v3, 17                                 // 000000010AD4: D2890052 00012303
	s_and_b32 s82, s82, 0xffffff                               // 000000010ADC: 8652FF52 00FFFFFF
	s_cmp_lt_u32 s82, s66                                      // 000000010AE4: BF0A4252
	s_cselect_b32 s21, s36, s60                                // 000000010AE8: 85153C24
	s_mov_b64 exec, s[20:21]                                   // 000000010AEC: BEFE0114
	global_atomic_add_f32 v6, v114, s[8:9] offset:8            // 000000010AF0: DD348008 00087206
	global_atomic_add_f32 v6, v118, s[8:9] offset:264          // 000000010AF8: DD348108 00087606
	s_mov_b64 exec, s[36:37]                                   // 000000010B00: BEFE0124
	v_mov_b32_e32 v6, v71                                      // 000000010B04: 7E0C0347
	s_mov_b64 s[60:61], 0                                      // 000000010B08: BEBC0180
	v_readlane_b32 s82, v3, 18                                 // 000000010B0C: D2890052 00012503
	s_and_b32 s82, s82, 0xffffff                               // 000000010B14: 8652FF52 00FFFFFF
	s_cmp_lt_u32 s82, s66                                      // 000000010B1C: BF0A4252
	s_cselect_b32 s20, s36, s60                                // 000000010B20: 85143C24
	v_readlane_b32 s82, v3, 19                                 // 000000010B24: D2890052 00012703
	s_and_b32 s82, s82, 0xffffff                               // 000000010B2C: 8652FF52 00FFFFFF
	s_cmp_lt_u32 s82, s66                                      // 000000010B34: BF0A4252
	s_cselect_b32 s21, s36, s60                                // 000000010B38: 85153C24
	s_mov_b64 exec, s[20:21]                                   // 000000010B3C: BEFE0114
	global_atomic_add_f32 v6, v115, s[8:9] offset:8            // 000000010B40: DD348008 00087306
	global_atomic_add_f32 v6, v119, s[8:9] offset:264          // 000000010B48: DD348108 00087706
	s_mov_b64 exec, s[36:37]                                   // 000000010B50: BEFE0124
	v_mov_b32_e32 v6, v72                                      // 000000010B54: 7E0C0348
	s_mov_b64 s[60:61], 0                                      // 000000010B58: BEBC0180
	v_readlane_b32 s82, v3, 20                                 // 000000010B5C: D2890052 00012903
	s_and_b32 s82, s82, 0xffffff                               // 000000010B64: 8652FF52 00FFFFFF
	s_cmp_lt_u32 s82, s66                                      // 000000010B6C: BF0A4252
	s_cselect_b32 s20, s36, s60                                // 000000010B70: 85143C24
	v_readlane_b32 s82, v3, 21                                 // 000000010B74: D2890052 00012B03
	s_and_b32 s82, s82, 0xffffff                               // 000000010B7C: 8652FF52 00FFFFFF
	s_cmp_lt_u32 s82, s66                                      // 000000010B84: BF0A4252
	s_cselect_b32 s21, s36, s60                                // 000000010B88: 85153C24
	s_mov_b64 exec, s[20:21]                                   // 000000010B8C: BEFE0114
	global_atomic_add_f32 v6, v122, s[8:9] offset:8            // 000000010B90: DD348008 00087A06
	global_atomic_add_f32 v6, v126, s[8:9] offset:264          // 000000010B98: DD348108 00087E06
	s_mov_b64 exec, s[36:37]                                   // 000000010BA0: BEFE0124
	v_mov_b32_e32 v6, v73                                      // 000000010BA4: 7E0C0349
	s_mov_b64 s[60:61], 0                                      // 000000010BA8: BEBC0180
	v_readlane_b32 s82, v3, 22                                 // 000000010BAC: D2890052 00012D03
	s_and_b32 s82, s82, 0xffffff                               // 000000010BB4: 8652FF52 00FFFFFF
	s_cmp_lt_u32 s82, s66                                      // 000000010BBC: BF0A4252
	s_cselect_b32 s20, s36, s60                                // 000000010BC0: 85143C24
	v_readlane_b32 s82, v3, 23                                 // 000000010BC4: D2890052 00012F03
	s_and_b32 s82, s82, 0xffffff                               // 000000010BCC: 8652FF52 00FFFFFF
	s_cmp_lt_u32 s82, s66                                      // 000000010BD4: BF0A4252
	s_cselect_b32 s21, s36, s60                                // 000000010BD8: 85153C24
	s_mov_b64 exec, s[20:21]                                   // 000000010BDC: BEFE0114
	global_atomic_add_f32 v6, v123, s[8:9] offset:8            // 000000010BE0: DD348008 00087B06
	global_atomic_add_f32 v6, v127, s[8:9] offset:264          // 000000010BE8: DD348108 00087F06
	s_mov_b64 exec, s[36:37]                                   // 000000010BF0: BEFE0124
	v_mov_b32_e32 v6, v74                                      // 000000010BF4: 7E0C034A
	s_mov_b64 s[60:61], 0                                      // 000000010BF8: BEBC0180
	v_readlane_b32 s82, v3, 24                                 // 000000010BFC: D2890052 00013103
	s_and_b32 s82, s82, 0xffffff                               // 000000010C04: 8652FF52 00FFFFFF
	s_cmp_lt_u32 s82, s66                                      // 000000010C0C: BF0A4252
	s_cselect_b32 s20, s36, s60                                // 000000010C10: 85143C24
	v_readlane_b32 s82, v3, 25                                 // 000000010C14: D2890052 00013303
	s_and_b32 s82, s82, 0xffffff                               // 000000010C1C: 8652FF52 00FFFFFF
	s_cmp_lt_u32 s82, s66                                      // 000000010C24: BF0A4252
	s_cselect_b32 s21, s36, s60                                // 000000010C28: 85153C24
	s_mov_b64 exec, s[20:21]                                   // 000000010C2C: BEFE0114
	global_atomic_add_f32 v6, v130, s[8:9] offset:8            // 000000010C30: DD348008 00088206
	global_atomic_add_f32 v6, v134, s[8:9] offset:264          // 000000010C38: DD348108 00088606
	s_mov_b64 exec, s[36:37]                                   // 000000010C40: BEFE0124
	v_mov_b32_e32 v6, v75                                      // 000000010C44: 7E0C034B
	s_mov_b64 s[60:61], 0                                      // 000000010C48: BEBC0180
	v_readlane_b32 s82, v3, 26                                 // 000000010C4C: D2890052 00013503
	s_and_b32 s82, s82, 0xffffff                               // 000000010C54: 8652FF52 00FFFFFF
	s_cmp_lt_u32 s82, s66                                      // 000000010C5C: BF0A4252
	s_cselect_b32 s20, s36, s60                                // 000000010C60: 85143C24
	v_readlane_b32 s82, v3, 27                                 // 000000010C64: D2890052 00013703
	s_and_b32 s82, s82, 0xffffff                               // 000000010C6C: 8652FF52 00FFFFFF
	s_cmp_lt_u32 s82, s66                                      // 000000010C74: BF0A4252
	s_cselect_b32 s21, s36, s60                                // 000000010C78: 85153C24
	s_mov_b64 exec, s[20:21]                                   // 000000010C7C: BEFE0114
	global_atomic_add_f32 v6, v131, s[8:9] offset:8            // 000000010C80: DD348008 00088306
	global_atomic_add_f32 v6, v135, s[8:9] offset:264          // 000000010C88: DD348108 00088706
	s_mov_b64 exec, s[36:37]                                   // 000000010C90: BEFE0124
	v_mov_b32_e32 v6, v76                                      // 000000010C94: 7E0C034C
	s_mov_b64 s[60:61], 0                                      // 000000010C98: BEBC0180
	v_readlane_b32 s82, v3, 28                                 // 000000010C9C: D2890052 00013903
	s_and_b32 s82, s82, 0xffffff                               // 000000010CA4: 8652FF52 00FFFFFF
	s_cmp_lt_u32 s82, s66                                      // 000000010CAC: BF0A4252
	s_cselect_b32 s20, s36, s60                                // 000000010CB0: 85143C24
	v_readlane_b32 s82, v3, 29                                 // 000000010CB4: D2890052 00013B03
	s_and_b32 s82, s82, 0xffffff                               // 000000010CBC: 8652FF52 00FFFFFF
	s_cmp_lt_u32 s82, s66                                      // 000000010CC4: BF0A4252
	s_cselect_b32 s21, s36, s60                                // 000000010CC8: 85153C24
	s_mov_b64 exec, s[20:21]                                   // 000000010CCC: BEFE0114
	global_atomic_add_f32 v6, v138, s[8:9] offset:8            // 000000010CD0: DD348008 00088A06
	global_atomic_add_f32 v6, v142, s[8:9] offset:264          // 000000010CD8: DD348108 00088E06
	s_mov_b64 exec, s[36:37]                                   // 000000010CE0: BEFE0124
	v_mov_b32_e32 v6, v77                                      // 000000010CE4: 7E0C034D
	s_mov_b64 s[60:61], 0                                      // 000000010CE8: BEBC0180
	v_readlane_b32 s82, v3, 30                                 // 000000010CEC: D2890052 00013D03
	s_and_b32 s82, s82, 0xffffff                               // 000000010CF4: 8652FF52 00FFFFFF
	s_cmp_lt_u32 s82, s66                                      // 000000010CFC: BF0A4252
	s_cselect_b32 s20, s36, s60                                // 000000010D00: 85143C24
	v_readlane_b32 s82, v3, 31                                 // 000000010D04: D2890052 00013F03
	s_and_b32 s82, s82, 0xffffff                               // 000000010D0C: 8652FF52 00FFFFFF
	s_cmp_lt_u32 s82, s66                                      // 000000010D14: BF0A4252
	s_cselect_b32 s21, s36, s60                                // 000000010D18: 85153C24
	s_mov_b64 exec, s[20:21]                                   // 000000010D1C: BEFE0114
	global_atomic_add_f32 v6, v139, s[8:9] offset:8            // 000000010D20: DD348008 00088B06
	global_atomic_add_f32 v6, v143, s[8:9] offset:264          // 000000010D28: DD348108 00088F06
	s_mov_b64 exec, s[36:37]                                   // 000000010D30: BEFE0124
	ds_write_b64 v20, v[144:145]                               // 000000010D34: D89A0000 00009014
	ds_write_b64 v20, v[148:149] offset:4352                   // 000000010D3C: D89A1100 00009414
	ds_write_b64 v20, v[152:153] offset:8704                   // 000000010D44: D89A2200 00009814
	ds_write_b64 v20, v[156:157] offset:13056                  // 000000010D4C: D89A3300 00009C14
	ds_write_b64 v20, v[160:161] offset:17408                  // 000000010D54: D89A4400 0000A014
	ds_write_b64 v20, v[164:165] offset:21760                  // 000000010D5C: D89A5500 0000A414
	ds_write_b64 v20, v[168:169] offset:26112                  // 000000010D64: D89A6600 0000A814
	ds_write_b64 v20, v[172:173] offset:30464                  // 000000010D6C: D89A7700 0000AC14
	ds_write_b64 v20, v[176:177] offset:2176                   // 000000010D74: D89A0880 0000B014
	ds_write_b64 v20, v[180:181] offset:6528                   // 000000010D7C: D89A1980 0000B414
	ds_write_b64 v20, v[184:185] offset:10880                  // 000000010D84: D89A2A80 0000B814
	ds_write_b64 v20, v[188:189] offset:15232                  // 000000010D8C: D89A3B80 0000BC14
	ds_write_b64 v20, v[192:193] offset:19584                  // 000000010D94: D89A4C80 0000C014
	ds_write_b64 v20, v[196:197] offset:23936                  // 000000010D9C: D89A5D80 0000C414
	ds_write_b64 v20, v[200:201] offset:28288                  // 000000010DA4: D89A6E80 0000C814
	ds_write_b64 v20, v[204:205] offset:32640                  // 000000010DAC: D89A7F80 0000CC14
	s_waitcnt lgkmcnt(0)                                       // 000000010DB4: BF8CC07F
	s_barrier                                                  // 000000010DB8: BF8A0000
	ds_read_b32 v144, v21                                      // 000000010DBC: D86C0000 90000015
	ds_read_b32 v145, v21 offset:64                            // 000000010DC4: D86C0040 91000015
	ds_read_b32 v148, v21 offset:2176                          // 000000010DCC: D86C0880 94000015
	ds_read_b32 v149, v21 offset:2240                          // 000000010DD4: D86C08C0 95000015
	ds_read_b32 v152, v21 offset:4352                          // 000000010DDC: D86C1100 98000015
	ds_read_b32 v153, v21 offset:4416                          // 000000010DE4: D86C1140 99000015
	ds_read_b32 v156, v21 offset:6528                          // 000000010DEC: D86C1980 9C000015
	ds_read_b32 v157, v21 offset:6592                          // 000000010DF4: D86C19C0 9D000015
	ds_read_b32 v160, v21 offset:8704                          // 000000010DFC: D86C2200 A0000015
	ds_read_b32 v161, v21 offset:8768                          // 000000010E04: D86C2240 A1000015
	ds_read_b32 v164, v21 offset:10880                         // 000000010E0C: D86C2A80 A4000015
	ds_read_b32 v165, v21 offset:10944                         // 000000010E14: D86C2AC0 A5000015
	ds_read_b32 v168, v21 offset:13056                         // 000000010E1C: D86C3300 A8000015
	ds_read_b32 v169, v21 offset:13120                         // 000000010E24: D86C3340 A9000015
	ds_read_b32 v172, v21 offset:15232                         // 000000010E2C: D86C3B80 AC000015
	ds_read_b32 v173, v21 offset:15296                         // 000000010E34: D86C3BC0 AD000015
	ds_read_b32 v176, v21 offset:17408                         // 000000010E3C: D86C4400 B0000015
	ds_read_b32 v177, v21 offset:17472                         // 000000010E44: D86C4440 B1000015
	ds_read_b32 v180, v21 offset:19584                         // 000000010E4C: D86C4C80 B4000015
	ds_read_b32 v181, v21 offset:19648                         // 000000010E54: D86C4CC0 B5000015
	ds_read_b32 v184, v21 offset:21760                         // 000000010E5C: D86C5500 B8000015
	ds_read_b32 v185, v21 offset:21824                         // 000000010E64: D86C5540 B9000015
	ds_read_b32 v188, v21 offset:23936                         // 000000010E6C: D86C5D80 BC000015
	ds_read_b32 v189, v21 offset:24000                         // 000000010E74: D86C5DC0 BD000015
	ds_read_b32 v192, v21 offset:26112                         // 000000010E7C: D86C6600 C0000015
	ds_read_b32 v193, v21 offset:26176                         // 000000010E84: D86C6640 C1000015
	ds_read_b32 v196, v21 offset:28288                         // 000000010E8C: D86C6E80 C4000015
	ds_read_b32 v197, v21 offset:28352                         // 000000010E94: D86C6EC0 C5000015
	ds_read_b32 v200, v21 offset:30464                         // 000000010E9C: D86C7700 C8000015
	ds_read_b32 v201, v21 offset:30528                         // 000000010EA4: D86C7740 C9000015
	ds_read_b32 v204, v21 offset:32640                         // 000000010EAC: D86C7F80 CC000015
	ds_read_b32 v205, v21 offset:32704                         // 000000010EB4: D86C7FC0 CD000015
	s_mul_i32 s60, s65, 4                                      // 000000010EBC: 923C8441
	s_add_u32 s8, s60, s8                                      // 000000010EC0: 8008083C
	s_addc_u32 s9, 0, s9                                       // 000000010EC4: 82090980
	s_waitcnt lgkmcnt(0)                                       // 000000010EC8: BF8CC07F
	v_mov_b32_e32 v7, 0                                        // 000000010ECC: 7E0E0280
	s_mov_b64 exec, s[36:37]                                   // 000000010ED0: BEFE0124
	v_mov_b32_e32 v6, v62                                      // 000000010ED4: 7E0C033E
	s_mov_b64 s[60:61], 0                                      // 000000010ED8: BEBC0180
	v_readlane_b32 s82, v3, 0                                  // 000000010EDC: D2890052 00010103
	s_and_b32 s82, s82, 0xffffff                               // 000000010EE4: 8652FF52 00FFFFFF
	s_cmp_lt_u32 s82, s66                                      // 000000010EEC: BF0A4252
	s_cselect_b32 s20, s36, s60                                // 000000010EF0: 85143C24
	v_readlane_b32 s82, v3, 1                                  // 000000010EF4: D2890052 00010303
	s_and_b32 s82, s82, 0xffffff                               // 000000010EFC: 8652FF52 00FFFFFF
	s_cmp_lt_u32 s82, s66                                      // 000000010F04: BF0A4252
	s_cselect_b32 s21, s36, s60                                // 000000010F08: 85153C24
	s_mov_b64 exec, s[20:21]                                   // 000000010F0C: BEFE0114
	global_atomic_add_f32 v6, v144, s[8:9]                     // 000000010F10: DD348000 00089006
	global_atomic_add_f32 v6, v148, s[8:9] offset:256          // 000000010F18: DD348100 00089406
	s_mov_b64 exec, s[36:37]                                   // 000000010F20: BEFE0124
	v_mov_b32_e32 v6, v63                                      // 000000010F24: 7E0C033F
	s_mov_b64 s[60:61], 0                                      // 000000010F28: BEBC0180
	v_readlane_b32 s82, v3, 2                                  // 000000010F2C: D2890052 00010503
	s_and_b32 s82, s82, 0xffffff                               // 000000010F34: 8652FF52 00FFFFFF
	s_cmp_lt_u32 s82, s66                                      // 000000010F3C: BF0A4252
	s_cselect_b32 s20, s36, s60                                // 000000010F40: 85143C24
	v_readlane_b32 s82, v3, 3                                  // 000000010F44: D2890052 00010703
	s_and_b32 s82, s82, 0xffffff                               // 000000010F4C: 8652FF52 00FFFFFF
	s_cmp_lt_u32 s82, s66                                      // 000000010F54: BF0A4252
	s_cselect_b32 s21, s36, s60                                // 000000010F58: 85153C24
	s_mov_b64 exec, s[20:21]                                   // 000000010F5C: BEFE0114
	global_atomic_add_f32 v6, v145, s[8:9]                     // 000000010F60: DD348000 00089106
	global_atomic_add_f32 v6, v149, s[8:9] offset:256          // 000000010F68: DD348100 00089506
	s_mov_b64 exec, s[36:37]                                   // 000000010F70: BEFE0124
	v_mov_b32_e32 v6, v64                                      // 000000010F74: 7E0C0340
	s_mov_b64 s[60:61], 0                                      // 000000010F78: BEBC0180
	v_readlane_b32 s82, v3, 4                                  // 000000010F7C: D2890052 00010903
	s_and_b32 s82, s82, 0xffffff                               // 000000010F84: 8652FF52 00FFFFFF
	s_cmp_lt_u32 s82, s66                                      // 000000010F8C: BF0A4252
	s_cselect_b32 s20, s36, s60                                // 000000010F90: 85143C24
	v_readlane_b32 s82, v3, 5                                  // 000000010F94: D2890052 00010B03
	s_and_b32 s82, s82, 0xffffff                               // 000000010F9C: 8652FF52 00FFFFFF
	s_cmp_lt_u32 s82, s66                                      // 000000010FA4: BF0A4252
	s_cselect_b32 s21, s36, s60                                // 000000010FA8: 85153C24
	s_mov_b64 exec, s[20:21]                                   // 000000010FAC: BEFE0114
	global_atomic_add_f32 v6, v152, s[8:9]                     // 000000010FB0: DD348000 00089806
	global_atomic_add_f32 v6, v156, s[8:9] offset:256          // 000000010FB8: DD348100 00089C06
	s_mov_b64 exec, s[36:37]                                   // 000000010FC0: BEFE0124
	v_mov_b32_e32 v6, v65                                      // 000000010FC4: 7E0C0341
	s_mov_b64 s[60:61], 0                                      // 000000010FC8: BEBC0180
	v_readlane_b32 s82, v3, 6                                  // 000000010FCC: D2890052 00010D03
	s_and_b32 s82, s82, 0xffffff                               // 000000010FD4: 8652FF52 00FFFFFF
	s_cmp_lt_u32 s82, s66                                      // 000000010FDC: BF0A4252
	s_cselect_b32 s20, s36, s60                                // 000000010FE0: 85143C24
	v_readlane_b32 s82, v3, 7                                  // 000000010FE4: D2890052 00010F03
	s_and_b32 s82, s82, 0xffffff                               // 000000010FEC: 8652FF52 00FFFFFF
	s_cmp_lt_u32 s82, s66                                      // 000000010FF4: BF0A4252
	s_cselect_b32 s21, s36, s60                                // 000000010FF8: 85153C24
	s_mov_b64 exec, s[20:21]                                   // 000000010FFC: BEFE0114
	global_atomic_add_f32 v6, v153, s[8:9]                     // 000000011000: DD348000 00089906
	global_atomic_add_f32 v6, v157, s[8:9] offset:256          // 000000011008: DD348100 00089D06
	s_mov_b64 exec, s[36:37]                                   // 000000011010: BEFE0124
	v_mov_b32_e32 v6, v66                                      // 000000011014: 7E0C0342
	s_mov_b64 s[60:61], 0                                      // 000000011018: BEBC0180
	v_readlane_b32 s82, v3, 8                                  // 00000001101C: D2890052 00011103
	s_and_b32 s82, s82, 0xffffff                               // 000000011024: 8652FF52 00FFFFFF
	s_cmp_lt_u32 s82, s66                                      // 00000001102C: BF0A4252
	s_cselect_b32 s20, s36, s60                                // 000000011030: 85143C24
	v_readlane_b32 s82, v3, 9                                  // 000000011034: D2890052 00011303
	s_and_b32 s82, s82, 0xffffff                               // 00000001103C: 8652FF52 00FFFFFF
	s_cmp_lt_u32 s82, s66                                      // 000000011044: BF0A4252
	s_cselect_b32 s21, s36, s60                                // 000000011048: 85153C24
	s_mov_b64 exec, s[20:21]                                   // 00000001104C: BEFE0114
	global_atomic_add_f32 v6, v160, s[8:9]                     // 000000011050: DD348000 0008A006
	global_atomic_add_f32 v6, v164, s[8:9] offset:256          // 000000011058: DD348100 0008A406
	s_mov_b64 exec, s[36:37]                                   // 000000011060: BEFE0124
	v_mov_b32_e32 v6, v67                                      // 000000011064: 7E0C0343
	s_mov_b64 s[60:61], 0                                      // 000000011068: BEBC0180
	v_readlane_b32 s82, v3, 10                                 // 00000001106C: D2890052 00011503
	s_and_b32 s82, s82, 0xffffff                               // 000000011074: 8652FF52 00FFFFFF
	s_cmp_lt_u32 s82, s66                                      // 00000001107C: BF0A4252
	s_cselect_b32 s20, s36, s60                                // 000000011080: 85143C24
	v_readlane_b32 s82, v3, 11                                 // 000000011084: D2890052 00011703
	s_and_b32 s82, s82, 0xffffff                               // 00000001108C: 8652FF52 00FFFFFF
	s_cmp_lt_u32 s82, s66                                      // 000000011094: BF0A4252
	s_cselect_b32 s21, s36, s60                                // 000000011098: 85153C24
	s_mov_b64 exec, s[20:21]                                   // 00000001109C: BEFE0114
	global_atomic_add_f32 v6, v161, s[8:9]                     // 0000000110A0: DD348000 0008A106
	global_atomic_add_f32 v6, v165, s[8:9] offset:256          // 0000000110A8: DD348100 0008A506
	s_mov_b64 exec, s[36:37]                                   // 0000000110B0: BEFE0124
	v_mov_b32_e32 v6, v68                                      // 0000000110B4: 7E0C0344
	s_mov_b64 s[60:61], 0                                      // 0000000110B8: BEBC0180
	v_readlane_b32 s82, v3, 12                                 // 0000000110BC: D2890052 00011903
	s_and_b32 s82, s82, 0xffffff                               // 0000000110C4: 8652FF52 00FFFFFF
	s_cmp_lt_u32 s82, s66                                      // 0000000110CC: BF0A4252
	s_cselect_b32 s20, s36, s60                                // 0000000110D0: 85143C24
	v_readlane_b32 s82, v3, 13                                 // 0000000110D4: D2890052 00011B03
	s_and_b32 s82, s82, 0xffffff                               // 0000000110DC: 8652FF52 00FFFFFF
	s_cmp_lt_u32 s82, s66                                      // 0000000110E4: BF0A4252
	s_cselect_b32 s21, s36, s60                                // 0000000110E8: 85153C24
	s_mov_b64 exec, s[20:21]                                   // 0000000110EC: BEFE0114
	global_atomic_add_f32 v6, v168, s[8:9]                     // 0000000110F0: DD348000 0008A806
	global_atomic_add_f32 v6, v172, s[8:9] offset:256          // 0000000110F8: DD348100 0008AC06
	s_mov_b64 exec, s[36:37]                                   // 000000011100: BEFE0124
	v_mov_b32_e32 v6, v69                                      // 000000011104: 7E0C0345
	s_mov_b64 s[60:61], 0                                      // 000000011108: BEBC0180
	v_readlane_b32 s82, v3, 14                                 // 00000001110C: D2890052 00011D03
	s_and_b32 s82, s82, 0xffffff                               // 000000011114: 8652FF52 00FFFFFF
	s_cmp_lt_u32 s82, s66                                      // 00000001111C: BF0A4252
	s_cselect_b32 s20, s36, s60                                // 000000011120: 85143C24
	v_readlane_b32 s82, v3, 15                                 // 000000011124: D2890052 00011F03
	s_and_b32 s82, s82, 0xffffff                               // 00000001112C: 8652FF52 00FFFFFF
	s_cmp_lt_u32 s82, s66                                      // 000000011134: BF0A4252
	s_cselect_b32 s21, s36, s60                                // 000000011138: 85153C24
	s_mov_b64 exec, s[20:21]                                   // 00000001113C: BEFE0114
	global_atomic_add_f32 v6, v169, s[8:9]                     // 000000011140: DD348000 0008A906
	global_atomic_add_f32 v6, v173, s[8:9] offset:256          // 000000011148: DD348100 0008AD06
	s_mov_b64 exec, s[36:37]                                   // 000000011150: BEFE0124
	v_mov_b32_e32 v6, v70                                      // 000000011154: 7E0C0346
	s_mov_b64 s[60:61], 0                                      // 000000011158: BEBC0180
	v_readlane_b32 s82, v3, 16                                 // 00000001115C: D2890052 00012103
	s_and_b32 s82, s82, 0xffffff                               // 000000011164: 8652FF52 00FFFFFF
	s_cmp_lt_u32 s82, s66                                      // 00000001116C: BF0A4252
	s_cselect_b32 s20, s36, s60                                // 000000011170: 85143C24
	v_readlane_b32 s82, v3, 17                                 // 000000011174: D2890052 00012303
	s_and_b32 s82, s82, 0xffffff                               // 00000001117C: 8652FF52 00FFFFFF
	s_cmp_lt_u32 s82, s66                                      // 000000011184: BF0A4252
	s_cselect_b32 s21, s36, s60                                // 000000011188: 85153C24
	s_mov_b64 exec, s[20:21]                                   // 00000001118C: BEFE0114
	global_atomic_add_f32 v6, v176, s[8:9]                     // 000000011190: DD348000 0008B006
	global_atomic_add_f32 v6, v180, s[8:9] offset:256          // 000000011198: DD348100 0008B406
	s_mov_b64 exec, s[36:37]                                   // 0000000111A0: BEFE0124
	v_mov_b32_e32 v6, v71                                      // 0000000111A4: 7E0C0347
	s_mov_b64 s[60:61], 0                                      // 0000000111A8: BEBC0180
	v_readlane_b32 s82, v3, 18                                 // 0000000111AC: D2890052 00012503
	s_and_b32 s82, s82, 0xffffff                               // 0000000111B4: 8652FF52 00FFFFFF
	s_cmp_lt_u32 s82, s66                                      // 0000000111BC: BF0A4252
	s_cselect_b32 s20, s36, s60                                // 0000000111C0: 85143C24
	v_readlane_b32 s82, v3, 19                                 // 0000000111C4: D2890052 00012703
	s_and_b32 s82, s82, 0xffffff                               // 0000000111CC: 8652FF52 00FFFFFF
	s_cmp_lt_u32 s82, s66                                      // 0000000111D4: BF0A4252
	s_cselect_b32 s21, s36, s60                                // 0000000111D8: 85153C24
	s_mov_b64 exec, s[20:21]                                   // 0000000111DC: BEFE0114
	global_atomic_add_f32 v6, v177, s[8:9]                     // 0000000111E0: DD348000 0008B106
	global_atomic_add_f32 v6, v181, s[8:9] offset:256          // 0000000111E8: DD348100 0008B506
	s_mov_b64 exec, s[36:37]                                   // 0000000111F0: BEFE0124
	v_mov_b32_e32 v6, v72                                      // 0000000111F4: 7E0C0348
	s_mov_b64 s[60:61], 0                                      // 0000000111F8: BEBC0180
	v_readlane_b32 s82, v3, 20                                 // 0000000111FC: D2890052 00012903
	s_and_b32 s82, s82, 0xffffff                               // 000000011204: 8652FF52 00FFFFFF
	s_cmp_lt_u32 s82, s66                                      // 00000001120C: BF0A4252
	s_cselect_b32 s20, s36, s60                                // 000000011210: 85143C24
	v_readlane_b32 s82, v3, 21                                 // 000000011214: D2890052 00012B03
	s_and_b32 s82, s82, 0xffffff                               // 00000001121C: 8652FF52 00FFFFFF
	s_cmp_lt_u32 s82, s66                                      // 000000011224: BF0A4252
	s_cselect_b32 s21, s36, s60                                // 000000011228: 85153C24
	s_mov_b64 exec, s[20:21]                                   // 00000001122C: BEFE0114
	global_atomic_add_f32 v6, v184, s[8:9]                     // 000000011230: DD348000 0008B806
	global_atomic_add_f32 v6, v188, s[8:9] offset:256          // 000000011238: DD348100 0008BC06
	s_mov_b64 exec, s[36:37]                                   // 000000011240: BEFE0124
	v_mov_b32_e32 v6, v73                                      // 000000011244: 7E0C0349
	s_mov_b64 s[60:61], 0                                      // 000000011248: BEBC0180
	v_readlane_b32 s82, v3, 22                                 // 00000001124C: D2890052 00012D03
	s_and_b32 s82, s82, 0xffffff                               // 000000011254: 8652FF52 00FFFFFF
	s_cmp_lt_u32 s82, s66                                      // 00000001125C: BF0A4252
	s_cselect_b32 s20, s36, s60                                // 000000011260: 85143C24
	v_readlane_b32 s82, v3, 23                                 // 000000011264: D2890052 00012F03
	s_and_b32 s82, s82, 0xffffff                               // 00000001126C: 8652FF52 00FFFFFF
	s_cmp_lt_u32 s82, s66                                      // 000000011274: BF0A4252
	s_cselect_b32 s21, s36, s60                                // 000000011278: 85153C24
	s_mov_b64 exec, s[20:21]                                   // 00000001127C: BEFE0114
	global_atomic_add_f32 v6, v185, s[8:9]                     // 000000011280: DD348000 0008B906
	global_atomic_add_f32 v6, v189, s[8:9] offset:256          // 000000011288: DD348100 0008BD06
	s_mov_b64 exec, s[36:37]                                   // 000000011290: BEFE0124
	v_mov_b32_e32 v6, v74                                      // 000000011294: 7E0C034A
	s_mov_b64 s[60:61], 0                                      // 000000011298: BEBC0180
	v_readlane_b32 s82, v3, 24                                 // 00000001129C: D2890052 00013103
	s_and_b32 s82, s82, 0xffffff                               // 0000000112A4: 8652FF52 00FFFFFF
	s_cmp_lt_u32 s82, s66                                      // 0000000112AC: BF0A4252
	s_cselect_b32 s20, s36, s60                                // 0000000112B0: 85143C24
	v_readlane_b32 s82, v3, 25                                 // 0000000112B4: D2890052 00013303
	s_and_b32 s82, s82, 0xffffff                               // 0000000112BC: 8652FF52 00FFFFFF
	s_cmp_lt_u32 s82, s66                                      // 0000000112C4: BF0A4252
	s_cselect_b32 s21, s36, s60                                // 0000000112C8: 85153C24
	s_mov_b64 exec, s[20:21]                                   // 0000000112CC: BEFE0114
	global_atomic_add_f32 v6, v192, s[8:9]                     // 0000000112D0: DD348000 0008C006
	global_atomic_add_f32 v6, v196, s[8:9] offset:256          // 0000000112D8: DD348100 0008C406
	s_mov_b64 exec, s[36:37]                                   // 0000000112E0: BEFE0124
	v_mov_b32_e32 v6, v75                                      // 0000000112E4: 7E0C034B
	s_mov_b64 s[60:61], 0                                      // 0000000112E8: BEBC0180
	v_readlane_b32 s82, v3, 26                                 // 0000000112EC: D2890052 00013503
	s_and_b32 s82, s82, 0xffffff                               // 0000000112F4: 8652FF52 00FFFFFF
	s_cmp_lt_u32 s82, s66                                      // 0000000112FC: BF0A4252
	s_cselect_b32 s20, s36, s60                                // 000000011300: 85143C24
	v_readlane_b32 s82, v3, 27                                 // 000000011304: D2890052 00013703
	s_and_b32 s82, s82, 0xffffff                               // 00000001130C: 8652FF52 00FFFFFF
	s_cmp_lt_u32 s82, s66                                      // 000000011314: BF0A4252
	s_cselect_b32 s21, s36, s60                                // 000000011318: 85153C24
	s_mov_b64 exec, s[20:21]                                   // 00000001131C: BEFE0114
	global_atomic_add_f32 v6, v193, s[8:9]                     // 000000011320: DD348000 0008C106
	global_atomic_add_f32 v6, v197, s[8:9] offset:256          // 000000011328: DD348100 0008C506
	s_mov_b64 exec, s[36:37]                                   // 000000011330: BEFE0124
	v_mov_b32_e32 v6, v76                                      // 000000011334: 7E0C034C
	s_mov_b64 s[60:61], 0                                      // 000000011338: BEBC0180
	v_readlane_b32 s82, v3, 28                                 // 00000001133C: D2890052 00013903
	s_and_b32 s82, s82, 0xffffff                               // 000000011344: 8652FF52 00FFFFFF
	s_cmp_lt_u32 s82, s66                                      // 00000001134C: BF0A4252
	s_cselect_b32 s20, s36, s60                                // 000000011350: 85143C24
	v_readlane_b32 s82, v3, 29                                 // 000000011354: D2890052 00013B03
	s_and_b32 s82, s82, 0xffffff                               // 00000001135C: 8652FF52 00FFFFFF
	s_cmp_lt_u32 s82, s66                                      // 000000011364: BF0A4252
	s_cselect_b32 s21, s36, s60                                // 000000011368: 85153C24
	s_mov_b64 exec, s[20:21]                                   // 00000001136C: BEFE0114
	global_atomic_add_f32 v6, v200, s[8:9]                     // 000000011370: DD348000 0008C806
	global_atomic_add_f32 v6, v204, s[8:9] offset:256          // 000000011378: DD348100 0008CC06
	s_mov_b64 exec, s[36:37]                                   // 000000011380: BEFE0124
	v_mov_b32_e32 v6, v77                                      // 000000011384: 7E0C034D
	s_mov_b64 s[60:61], 0                                      // 000000011388: BEBC0180
	v_readlane_b32 s82, v3, 30                                 // 00000001138C: D2890052 00013D03
	s_and_b32 s82, s82, 0xffffff                               // 000000011394: 8652FF52 00FFFFFF
	s_cmp_lt_u32 s82, s66                                      // 00000001139C: BF0A4252
	s_cselect_b32 s20, s36, s60                                // 0000000113A0: 85143C24
	v_readlane_b32 s82, v3, 31                                 // 0000000113A4: D2890052 00013F03
	s_and_b32 s82, s82, 0xffffff                               // 0000000113AC: 8652FF52 00FFFFFF
	s_cmp_lt_u32 s82, s66                                      // 0000000113B4: BF0A4252
	s_cselect_b32 s21, s36, s60                                // 0000000113B8: 85153C24
	s_mov_b64 exec, s[20:21]                                   // 0000000113BC: BEFE0114
	global_atomic_add_f32 v6, v201, s[8:9]                     // 0000000113C0: DD348000 0008C906
	global_atomic_add_f32 v6, v205, s[8:9] offset:256          // 0000000113C8: DD348100 0008CD06
	s_mov_b64 exec, s[36:37]                                   // 0000000113D0: BEFE0124
	ds_write_b64 v20, v[146:147]                               // 0000000113D4: D89A0000 00009214
	ds_write_b64 v20, v[150:151] offset:4352                   // 0000000113DC: D89A1100 00009614
	ds_write_b64 v20, v[154:155] offset:8704                   // 0000000113E4: D89A2200 00009A14
	ds_write_b64 v20, v[158:159] offset:13056                  // 0000000113EC: D89A3300 00009E14
	ds_write_b64 v20, v[162:163] offset:17408                  // 0000000113F4: D89A4400 0000A214
	ds_write_b64 v20, v[166:167] offset:21760                  // 0000000113FC: D89A5500 0000A614
	ds_write_b64 v20, v[170:171] offset:26112                  // 000000011404: D89A6600 0000AA14
	ds_write_b64 v20, v[174:175] offset:30464                  // 00000001140C: D89A7700 0000AE14
	ds_write_b64 v20, v[178:179] offset:2176                   // 000000011414: D89A0880 0000B214
	ds_write_b64 v20, v[182:183] offset:6528                   // 00000001141C: D89A1980 0000B614
	ds_write_b64 v20, v[186:187] offset:10880                  // 000000011424: D89A2A80 0000BA14
	ds_write_b64 v20, v[190:191] offset:15232                  // 00000001142C: D89A3B80 0000BE14
	ds_write_b64 v20, v[194:195] offset:19584                  // 000000011434: D89A4C80 0000C214
	ds_write_b64 v20, v[198:199] offset:23936                  // 00000001143C: D89A5D80 0000C614
	ds_write_b64 v20, v[202:203] offset:28288                  // 000000011444: D89A6E80 0000CA14
	ds_write_b64 v20, v[206:207] offset:32640                  // 00000001144C: D89A7F80 0000CE14
	s_waitcnt lgkmcnt(0)                                       // 000000011454: BF8CC07F
	s_barrier                                                  // 000000011458: BF8A0000
	ds_read_b32 v146, v21                                      // 00000001145C: D86C0000 92000015
	ds_read_b32 v147, v21 offset:64                            // 000000011464: D86C0040 93000015
	ds_read_b32 v150, v21 offset:2176                          // 00000001146C: D86C0880 96000015
	ds_read_b32 v151, v21 offset:2240                          // 000000011474: D86C08C0 97000015
	ds_read_b32 v154, v21 offset:4352                          // 00000001147C: D86C1100 9A000015
	ds_read_b32 v155, v21 offset:4416                          // 000000011484: D86C1140 9B000015
	ds_read_b32 v158, v21 offset:6528                          // 00000001148C: D86C1980 9E000015
	ds_read_b32 v159, v21 offset:6592                          // 000000011494: D86C19C0 9F000015
	ds_read_b32 v162, v21 offset:8704                          // 00000001149C: D86C2200 A2000015
	ds_read_b32 v163, v21 offset:8768                          // 0000000114A4: D86C2240 A3000015
	ds_read_b32 v166, v21 offset:10880                         // 0000000114AC: D86C2A80 A6000015
	ds_read_b32 v167, v21 offset:10944                         // 0000000114B4: D86C2AC0 A7000015
	ds_read_b32 v170, v21 offset:13056                         // 0000000114BC: D86C3300 AA000015
	ds_read_b32 v171, v21 offset:13120                         // 0000000114C4: D86C3340 AB000015
	ds_read_b32 v174, v21 offset:15232                         // 0000000114CC: D86C3B80 AE000015
	ds_read_b32 v175, v21 offset:15296                         // 0000000114D4: D86C3BC0 AF000015
	ds_read_b32 v178, v21 offset:17408                         // 0000000114DC: D86C4400 B2000015
	ds_read_b32 v179, v21 offset:17472                         // 0000000114E4: D86C4440 B3000015
	ds_read_b32 v182, v21 offset:19584                         // 0000000114EC: D86C4C80 B6000015
	ds_read_b32 v183, v21 offset:19648                         // 0000000114F4: D86C4CC0 B7000015
	ds_read_b32 v186, v21 offset:21760                         // 0000000114FC: D86C5500 BA000015
	ds_read_b32 v187, v21 offset:21824                         // 000000011504: D86C5540 BB000015
	ds_read_b32 v190, v21 offset:23936                         // 00000001150C: D86C5D80 BE000015
	ds_read_b32 v191, v21 offset:24000                         // 000000011514: D86C5DC0 BF000015
	ds_read_b32 v194, v21 offset:26112                         // 00000001151C: D86C6600 C2000015
	ds_read_b32 v195, v21 offset:26176                         // 000000011524: D86C6640 C3000015
	ds_read_b32 v198, v21 offset:28288                         // 00000001152C: D86C6E80 C6000015
	ds_read_b32 v199, v21 offset:28352                         // 000000011534: D86C6EC0 C7000015
	ds_read_b32 v202, v21 offset:30464                         // 00000001153C: D86C7700 CA000015
	ds_read_b32 v203, v21 offset:30528                         // 000000011544: D86C7740 CB000015
	ds_read_b32 v206, v21 offset:32640                         // 00000001154C: D86C7F80 CE000015
	ds_read_b32 v207, v21 offset:32704                         // 000000011554: D86C7FC0 CF000015
	s_waitcnt lgkmcnt(0)                                       // 00000001155C: BF8CC07F
	v_mov_b32_e32 v7, 0                                        // 000000011560: 7E0E0280
	s_mov_b64 exec, s[36:37]                                   // 000000011564: BEFE0124
	v_mov_b32_e32 v6, v62                                      // 000000011568: 7E0C033E
	s_mov_b64 s[60:61], 0                                      // 00000001156C: BEBC0180
	v_readlane_b32 s82, v3, 0                                  // 000000011570: D2890052 00010103
	s_and_b32 s82, s82, 0xffffff                               // 000000011578: 8652FF52 00FFFFFF
	s_cmp_lt_u32 s82, s66                                      // 000000011580: BF0A4252
	s_cselect_b32 s20, s36, s60                                // 000000011584: 85143C24
	v_readlane_b32 s82, v3, 1                                  // 000000011588: D2890052 00010303
	s_and_b32 s82, s82, 0xffffff                               // 000000011590: 8652FF52 00FFFFFF
	s_cmp_lt_u32 s82, s66                                      // 000000011598: BF0A4252
	s_cselect_b32 s21, s36, s60                                // 00000001159C: 85153C24
	s_mov_b64 exec, s[20:21]                                   // 0000000115A0: BEFE0114
	global_atomic_add_f32 v6, v146, s[8:9] offset:8            // 0000000115A4: DD348008 00089206
	global_atomic_add_f32 v6, v150, s[8:9] offset:264          // 0000000115AC: DD348108 00089606
	s_mov_b64 exec, s[36:37]                                   // 0000000115B4: BEFE0124
	v_mov_b32_e32 v6, v63                                      // 0000000115B8: 7E0C033F
	s_mov_b64 s[60:61], 0                                      // 0000000115BC: BEBC0180
	v_readlane_b32 s82, v3, 2                                  // 0000000115C0: D2890052 00010503
	s_and_b32 s82, s82, 0xffffff                               // 0000000115C8: 8652FF52 00FFFFFF
	s_cmp_lt_u32 s82, s66                                      // 0000000115D0: BF0A4252
	s_cselect_b32 s20, s36, s60                                // 0000000115D4: 85143C24
	v_readlane_b32 s82, v3, 3                                  // 0000000115D8: D2890052 00010703
	s_and_b32 s82, s82, 0xffffff                               // 0000000115E0: 8652FF52 00FFFFFF
	s_cmp_lt_u32 s82, s66                                      // 0000000115E8: BF0A4252
	s_cselect_b32 s21, s36, s60                                // 0000000115EC: 85153C24
	s_mov_b64 exec, s[20:21]                                   // 0000000115F0: BEFE0114
	global_atomic_add_f32 v6, v147, s[8:9] offset:8            // 0000000115F4: DD348008 00089306
	global_atomic_add_f32 v6, v151, s[8:9] offset:264          // 0000000115FC: DD348108 00089706
	s_mov_b64 exec, s[36:37]                                   // 000000011604: BEFE0124
	v_mov_b32_e32 v6, v64                                      // 000000011608: 7E0C0340
	s_mov_b64 s[60:61], 0                                      // 00000001160C: BEBC0180
	v_readlane_b32 s82, v3, 4                                  // 000000011610: D2890052 00010903
	s_and_b32 s82, s82, 0xffffff                               // 000000011618: 8652FF52 00FFFFFF
	s_cmp_lt_u32 s82, s66                                      // 000000011620: BF0A4252
	s_cselect_b32 s20, s36, s60                                // 000000011624: 85143C24
	v_readlane_b32 s82, v3, 5                                  // 000000011628: D2890052 00010B03
	s_and_b32 s82, s82, 0xffffff                               // 000000011630: 8652FF52 00FFFFFF
	s_cmp_lt_u32 s82, s66                                      // 000000011638: BF0A4252
	s_cselect_b32 s21, s36, s60                                // 00000001163C: 85153C24
	s_mov_b64 exec, s[20:21]                                   // 000000011640: BEFE0114
	global_atomic_add_f32 v6, v154, s[8:9] offset:8            // 000000011644: DD348008 00089A06
	global_atomic_add_f32 v6, v158, s[8:9] offset:264          // 00000001164C: DD348108 00089E06
	s_mov_b64 exec, s[36:37]                                   // 000000011654: BEFE0124
	v_mov_b32_e32 v6, v65                                      // 000000011658: 7E0C0341
	s_mov_b64 s[60:61], 0                                      // 00000001165C: BEBC0180
	v_readlane_b32 s82, v3, 6                                  // 000000011660: D2890052 00010D03
	s_and_b32 s82, s82, 0xffffff                               // 000000011668: 8652FF52 00FFFFFF
	s_cmp_lt_u32 s82, s66                                      // 000000011670: BF0A4252
	s_cselect_b32 s20, s36, s60                                // 000000011674: 85143C24
	v_readlane_b32 s82, v3, 7                                  // 000000011678: D2890052 00010F03
	s_and_b32 s82, s82, 0xffffff                               // 000000011680: 8652FF52 00FFFFFF
	s_cmp_lt_u32 s82, s66                                      // 000000011688: BF0A4252
	s_cselect_b32 s21, s36, s60                                // 00000001168C: 85153C24
	s_mov_b64 exec, s[20:21]                                   // 000000011690: BEFE0114
	global_atomic_add_f32 v6, v155, s[8:9] offset:8            // 000000011694: DD348008 00089B06
	global_atomic_add_f32 v6, v159, s[8:9] offset:264          // 00000001169C: DD348108 00089F06
	s_mov_b64 exec, s[36:37]                                   // 0000000116A4: BEFE0124
	v_mov_b32_e32 v6, v66                                      // 0000000116A8: 7E0C0342
	s_mov_b64 s[60:61], 0                                      // 0000000116AC: BEBC0180
	v_readlane_b32 s82, v3, 8                                  // 0000000116B0: D2890052 00011103
	s_and_b32 s82, s82, 0xffffff                               // 0000000116B8: 8652FF52 00FFFFFF
	s_cmp_lt_u32 s82, s66                                      // 0000000116C0: BF0A4252
	s_cselect_b32 s20, s36, s60                                // 0000000116C4: 85143C24
	v_readlane_b32 s82, v3, 9                                  // 0000000116C8: D2890052 00011303
	s_and_b32 s82, s82, 0xffffff                               // 0000000116D0: 8652FF52 00FFFFFF
	s_cmp_lt_u32 s82, s66                                      // 0000000116D8: BF0A4252
	s_cselect_b32 s21, s36, s60                                // 0000000116DC: 85153C24
	s_mov_b64 exec, s[20:21]                                   // 0000000116E0: BEFE0114
	global_atomic_add_f32 v6, v162, s[8:9] offset:8            // 0000000116E4: DD348008 0008A206
	global_atomic_add_f32 v6, v166, s[8:9] offset:264          // 0000000116EC: DD348108 0008A606
	s_mov_b64 exec, s[36:37]                                   // 0000000116F4: BEFE0124
	v_mov_b32_e32 v6, v67                                      // 0000000116F8: 7E0C0343
	s_mov_b64 s[60:61], 0                                      // 0000000116FC: BEBC0180
	v_readlane_b32 s82, v3, 10                                 // 000000011700: D2890052 00011503
	s_and_b32 s82, s82, 0xffffff                               // 000000011708: 8652FF52 00FFFFFF
	s_cmp_lt_u32 s82, s66                                      // 000000011710: BF0A4252
	s_cselect_b32 s20, s36, s60                                // 000000011714: 85143C24
	v_readlane_b32 s82, v3, 11                                 // 000000011718: D2890052 00011703
	s_and_b32 s82, s82, 0xffffff                               // 000000011720: 8652FF52 00FFFFFF
	s_cmp_lt_u32 s82, s66                                      // 000000011728: BF0A4252
	s_cselect_b32 s21, s36, s60                                // 00000001172C: 85153C24
	s_mov_b64 exec, s[20:21]                                   // 000000011730: BEFE0114
	global_atomic_add_f32 v6, v163, s[8:9] offset:8            // 000000011734: DD348008 0008A306
	global_atomic_add_f32 v6, v167, s[8:9] offset:264          // 00000001173C: DD348108 0008A706
	s_mov_b64 exec, s[36:37]                                   // 000000011744: BEFE0124
	v_mov_b32_e32 v6, v68                                      // 000000011748: 7E0C0344
	s_mov_b64 s[60:61], 0                                      // 00000001174C: BEBC0180
	v_readlane_b32 s82, v3, 12                                 // 000000011750: D2890052 00011903
	s_and_b32 s82, s82, 0xffffff                               // 000000011758: 8652FF52 00FFFFFF
	s_cmp_lt_u32 s82, s66                                      // 000000011760: BF0A4252
	s_cselect_b32 s20, s36, s60                                // 000000011764: 85143C24
	v_readlane_b32 s82, v3, 13                                 // 000000011768: D2890052 00011B03
	s_and_b32 s82, s82, 0xffffff                               // 000000011770: 8652FF52 00FFFFFF
	s_cmp_lt_u32 s82, s66                                      // 000000011778: BF0A4252
	s_cselect_b32 s21, s36, s60                                // 00000001177C: 85153C24
	s_mov_b64 exec, s[20:21]                                   // 000000011780: BEFE0114
	global_atomic_add_f32 v6, v170, s[8:9] offset:8            // 000000011784: DD348008 0008AA06
	global_atomic_add_f32 v6, v174, s[8:9] offset:264          // 00000001178C: DD348108 0008AE06
	s_mov_b64 exec, s[36:37]                                   // 000000011794: BEFE0124
	v_mov_b32_e32 v6, v69                                      // 000000011798: 7E0C0345
	s_mov_b64 s[60:61], 0                                      // 00000001179C: BEBC0180
	v_readlane_b32 s82, v3, 14                                 // 0000000117A0: D2890052 00011D03
	s_and_b32 s82, s82, 0xffffff                               // 0000000117A8: 8652FF52 00FFFFFF
	s_cmp_lt_u32 s82, s66                                      // 0000000117B0: BF0A4252
	s_cselect_b32 s20, s36, s60                                // 0000000117B4: 85143C24
	v_readlane_b32 s82, v3, 15                                 // 0000000117B8: D2890052 00011F03
	s_and_b32 s82, s82, 0xffffff                               // 0000000117C0: 8652FF52 00FFFFFF
	s_cmp_lt_u32 s82, s66                                      // 0000000117C8: BF0A4252
	s_cselect_b32 s21, s36, s60                                // 0000000117CC: 85153C24
	s_mov_b64 exec, s[20:21]                                   // 0000000117D0: BEFE0114
	global_atomic_add_f32 v6, v171, s[8:9] offset:8            // 0000000117D4: DD348008 0008AB06
	global_atomic_add_f32 v6, v175, s[8:9] offset:264          // 0000000117DC: DD348108 0008AF06
	s_mov_b64 exec, s[36:37]                                   // 0000000117E4: BEFE0124
	v_mov_b32_e32 v6, v70                                      // 0000000117E8: 7E0C0346
	s_mov_b64 s[60:61], 0                                      // 0000000117EC: BEBC0180
	v_readlane_b32 s82, v3, 16                                 // 0000000117F0: D2890052 00012103
	s_and_b32 s82, s82, 0xffffff                               // 0000000117F8: 8652FF52 00FFFFFF
	s_cmp_lt_u32 s82, s66                                      // 000000011800: BF0A4252
	s_cselect_b32 s20, s36, s60                                // 000000011804: 85143C24
	v_readlane_b32 s82, v3, 17                                 // 000000011808: D2890052 00012303
	s_and_b32 s82, s82, 0xffffff                               // 000000011810: 8652FF52 00FFFFFF
	s_cmp_lt_u32 s82, s66                                      // 000000011818: BF0A4252
	s_cselect_b32 s21, s36, s60                                // 00000001181C: 85153C24
	s_mov_b64 exec, s[20:21]                                   // 000000011820: BEFE0114
	global_atomic_add_f32 v6, v178, s[8:9] offset:8            // 000000011824: DD348008 0008B206
	global_atomic_add_f32 v6, v182, s[8:9] offset:264          // 00000001182C: DD348108 0008B606
	s_mov_b64 exec, s[36:37]                                   // 000000011834: BEFE0124
	v_mov_b32_e32 v6, v71                                      // 000000011838: 7E0C0347
	s_mov_b64 s[60:61], 0                                      // 00000001183C: BEBC0180
	v_readlane_b32 s82, v3, 18                                 // 000000011840: D2890052 00012503
	s_and_b32 s82, s82, 0xffffff                               // 000000011848: 8652FF52 00FFFFFF
	s_cmp_lt_u32 s82, s66                                      // 000000011850: BF0A4252
	s_cselect_b32 s20, s36, s60                                // 000000011854: 85143C24
	v_readlane_b32 s82, v3, 19                                 // 000000011858: D2890052 00012703
	s_and_b32 s82, s82, 0xffffff                               // 000000011860: 8652FF52 00FFFFFF
	s_cmp_lt_u32 s82, s66                                      // 000000011868: BF0A4252
	s_cselect_b32 s21, s36, s60                                // 00000001186C: 85153C24
	s_mov_b64 exec, s[20:21]                                   // 000000011870: BEFE0114
	global_atomic_add_f32 v6, v179, s[8:9] offset:8            // 000000011874: DD348008 0008B306
	global_atomic_add_f32 v6, v183, s[8:9] offset:264          // 00000001187C: DD348108 0008B706
	s_mov_b64 exec, s[36:37]                                   // 000000011884: BEFE0124
	v_mov_b32_e32 v6, v72                                      // 000000011888: 7E0C0348
	s_mov_b64 s[60:61], 0                                      // 00000001188C: BEBC0180
	v_readlane_b32 s82, v3, 20                                 // 000000011890: D2890052 00012903
	s_and_b32 s82, s82, 0xffffff                               // 000000011898: 8652FF52 00FFFFFF
	s_cmp_lt_u32 s82, s66                                      // 0000000118A0: BF0A4252
	s_cselect_b32 s20, s36, s60                                // 0000000118A4: 85143C24
	v_readlane_b32 s82, v3, 21                                 // 0000000118A8: D2890052 00012B03
	s_and_b32 s82, s82, 0xffffff                               // 0000000118B0: 8652FF52 00FFFFFF
	s_cmp_lt_u32 s82, s66                                      // 0000000118B8: BF0A4252
	s_cselect_b32 s21, s36, s60                                // 0000000118BC: 85153C24
	s_mov_b64 exec, s[20:21]                                   // 0000000118C0: BEFE0114
	global_atomic_add_f32 v6, v186, s[8:9] offset:8            // 0000000118C4: DD348008 0008BA06
	global_atomic_add_f32 v6, v190, s[8:9] offset:264          // 0000000118CC: DD348108 0008BE06
	s_mov_b64 exec, s[36:37]                                   // 0000000118D4: BEFE0124
	v_mov_b32_e32 v6, v73                                      // 0000000118D8: 7E0C0349
	s_mov_b64 s[60:61], 0                                      // 0000000118DC: BEBC0180
	v_readlane_b32 s82, v3, 22                                 // 0000000118E0: D2890052 00012D03
	s_and_b32 s82, s82, 0xffffff                               // 0000000118E8: 8652FF52 00FFFFFF
	s_cmp_lt_u32 s82, s66                                      // 0000000118F0: BF0A4252
	s_cselect_b32 s20, s36, s60                                // 0000000118F4: 85143C24
	v_readlane_b32 s82, v3, 23                                 // 0000000118F8: D2890052 00012F03
	s_and_b32 s82, s82, 0xffffff                               // 000000011900: 8652FF52 00FFFFFF
	s_cmp_lt_u32 s82, s66                                      // 000000011908: BF0A4252
	s_cselect_b32 s21, s36, s60                                // 00000001190C: 85153C24
	s_mov_b64 exec, s[20:21]                                   // 000000011910: BEFE0114
	global_atomic_add_f32 v6, v187, s[8:9] offset:8            // 000000011914: DD348008 0008BB06
	global_atomic_add_f32 v6, v191, s[8:9] offset:264          // 00000001191C: DD348108 0008BF06
	s_mov_b64 exec, s[36:37]                                   // 000000011924: BEFE0124
	v_mov_b32_e32 v6, v74                                      // 000000011928: 7E0C034A
	s_mov_b64 s[60:61], 0                                      // 00000001192C: BEBC0180
	v_readlane_b32 s82, v3, 24                                 // 000000011930: D2890052 00013103
	s_and_b32 s82, s82, 0xffffff                               // 000000011938: 8652FF52 00FFFFFF
	s_cmp_lt_u32 s82, s66                                      // 000000011940: BF0A4252
	s_cselect_b32 s20, s36, s60                                // 000000011944: 85143C24
	v_readlane_b32 s82, v3, 25                                 // 000000011948: D2890052 00013303
	s_and_b32 s82, s82, 0xffffff                               // 000000011950: 8652FF52 00FFFFFF
	s_cmp_lt_u32 s82, s66                                      // 000000011958: BF0A4252
	s_cselect_b32 s21, s36, s60                                // 00000001195C: 85153C24
	s_mov_b64 exec, s[20:21]                                   // 000000011960: BEFE0114
	global_atomic_add_f32 v6, v194, s[8:9] offset:8            // 000000011964: DD348008 0008C206
	global_atomic_add_f32 v6, v198, s[8:9] offset:264          // 00000001196C: DD348108 0008C606
	s_mov_b64 exec, s[36:37]                                   // 000000011974: BEFE0124
	v_mov_b32_e32 v6, v75                                      // 000000011978: 7E0C034B
	s_mov_b64 s[60:61], 0                                      // 00000001197C: BEBC0180
	v_readlane_b32 s82, v3, 26                                 // 000000011980: D2890052 00013503
	s_and_b32 s82, s82, 0xffffff                               // 000000011988: 8652FF52 00FFFFFF
	s_cmp_lt_u32 s82, s66                                      // 000000011990: BF0A4252
	s_cselect_b32 s20, s36, s60                                // 000000011994: 85143C24
	v_readlane_b32 s82, v3, 27                                 // 000000011998: D2890052 00013703
	s_and_b32 s82, s82, 0xffffff                               // 0000000119A0: 8652FF52 00FFFFFF
	s_cmp_lt_u32 s82, s66                                      // 0000000119A8: BF0A4252
	s_cselect_b32 s21, s36, s60                                // 0000000119AC: 85153C24
	s_mov_b64 exec, s[20:21]                                   // 0000000119B0: BEFE0114
	global_atomic_add_f32 v6, v195, s[8:9] offset:8            // 0000000119B4: DD348008 0008C306
	global_atomic_add_f32 v6, v199, s[8:9] offset:264          // 0000000119BC: DD348108 0008C706
	s_mov_b64 exec, s[36:37]                                   // 0000000119C4: BEFE0124
	v_mov_b32_e32 v6, v76                                      // 0000000119C8: 7E0C034C
	s_mov_b64 s[60:61], 0                                      // 0000000119CC: BEBC0180
	v_readlane_b32 s82, v3, 28                                 // 0000000119D0: D2890052 00013903
	s_and_b32 s82, s82, 0xffffff                               // 0000000119D8: 8652FF52 00FFFFFF
	s_cmp_lt_u32 s82, s66                                      // 0000000119E0: BF0A4252
	s_cselect_b32 s20, s36, s60                                // 0000000119E4: 85143C24
	v_readlane_b32 s82, v3, 29                                 // 0000000119E8: D2890052 00013B03
	s_and_b32 s82, s82, 0xffffff                               // 0000000119F0: 8652FF52 00FFFFFF
	s_cmp_lt_u32 s82, s66                                      // 0000000119F8: BF0A4252
	s_cselect_b32 s21, s36, s60                                // 0000000119FC: 85153C24
	s_mov_b64 exec, s[20:21]                                   // 000000011A00: BEFE0114
	global_atomic_add_f32 v6, v202, s[8:9] offset:8            // 000000011A04: DD348008 0008CA06
	global_atomic_add_f32 v6, v206, s[8:9] offset:264          // 000000011A0C: DD348108 0008CE06
	s_mov_b64 exec, s[36:37]                                   // 000000011A14: BEFE0124
	v_mov_b32_e32 v6, v77                                      // 000000011A18: 7E0C034D
	s_mov_b64 s[60:61], 0                                      // 000000011A1C: BEBC0180
	v_readlane_b32 s82, v3, 30                                 // 000000011A20: D2890052 00013D03
	s_and_b32 s82, s82, 0xffffff                               // 000000011A28: 8652FF52 00FFFFFF
	s_cmp_lt_u32 s82, s66                                      // 000000011A30: BF0A4252
	s_cselect_b32 s20, s36, s60                                // 000000011A34: 85143C24
	v_readlane_b32 s82, v3, 31                                 // 000000011A38: D2890052 00013F03
	s_and_b32 s82, s82, 0xffffff                               // 000000011A40: 8652FF52 00FFFFFF
	s_cmp_lt_u32 s82, s66                                      // 000000011A48: BF0A4252
	s_cselect_b32 s21, s36, s60                                // 000000011A4C: 85153C24
	s_mov_b64 exec, s[20:21]                                   // 000000011A50: BEFE0114
	global_atomic_add_f32 v6, v203, s[8:9] offset:8            // 000000011A54: DD348008 0008CB06
	global_atomic_add_f32 v6, v207, s[8:9] offset:264          // 000000011A5C: DD348108 0008CF06
	s_mov_b64 exec, s[36:37]                                   // 000000011A64: BEFE0124
	s_branch label_3C1E                                        // 000000011A68: BF820000

0000000000011a6c <label_3C1E>:
	s_waitcnt vmcnt(0) expcnt(0) lgkmcnt(0)                    // 000000011A6C: BF8C0000
	s_endpgm                                                   // 000000011A70: BF810000
